;; amdgpu-corpus repo=ROCm/rocFFT kind=compiled arch=gfx906 opt=O3
	.text
	.amdgcn_target "amdgcn-amd-amdhsa--gfx906"
	.amdhsa_code_object_version 6
	.protected	bluestein_single_back_len3840_dim1_sp_op_CI_CI ; -- Begin function bluestein_single_back_len3840_dim1_sp_op_CI_CI
	.globl	bluestein_single_back_len3840_dim1_sp_op_CI_CI
	.p2align	8
	.type	bluestein_single_back_len3840_dim1_sp_op_CI_CI,@function
bluestein_single_back_len3840_dim1_sp_op_CI_CI: ; @bluestein_single_back_len3840_dim1_sp_op_CI_CI
; %bb.0:
	s_load_dwordx4 s[16:19], s[4:5], 0x28
	s_mov_b64 s[22:23], s[2:3]
	s_mov_b64 s[20:21], s[0:1]
	s_add_u32 s20, s20, s7
	v_mov_b32_e32 v234, v0
	s_waitcnt lgkmcnt(0)
	v_mov_b32_e32 v0, s16
	v_mov_b32_e32 v1, s17
	s_mov_b32 s7, 0
	v_cmp_lt_u64_e32 vcc, s[6:7], v[0:1]
	s_addc_u32 s21, s21, 0
	s_and_saveexec_b64 s[0:1], vcc
	s_cbranch_execz .LBB0_2
; %bb.1:
	s_load_dwordx4 s[0:3], s[4:5], 0x18
	s_load_dwordx4 s[8:11], s[4:5], 0x0
	v_mov_b32_e32 v2, s6
	v_mov_b32_e32 v4, v2
	;; [unrolled: 1-line block ×3, first 2 shown]
	s_waitcnt lgkmcnt(0)
	s_load_dwordx4 s[12:15], s[0:1], 0x0
	buffer_store_dword v4, off, s[20:23], 0 offset:240 ; 4-byte Folded Spill
	s_nop 0
	buffer_store_dword v5, off, s[20:23], 0 offset:244 ; 4-byte Folded Spill
	v_mov_b32_e32 v7, s19
	s_add_u32 s6, s8, 0x7800
	s_addc_u32 s7, s9, 0
	s_waitcnt lgkmcnt(0)
	v_mad_u64_u32 v[0:1], s[0:1], s14, v2, 0
	v_mad_u64_u32 v[2:3], s[0:1], s12, v234, 0
	s_mul_hi_u32 s14, s12, 0xc00
	v_or_b32_e32 v83, 0x300, v234
	v_or_b32_e32 v77, 0x480, v234
	;; [unrolled: 1-line block ×3, first 2 shown]
	v_lshlrev_b32_e32 v217, 3, v77
	v_lshlrev_b32_e32 v197, 3, v76
	v_or_b32_e32 v84, 0x200, v234
	v_or_b32_e32 v45, 0x380, v234
	v_lshlrev_b32_e32 v57, 3, v84
	v_lshlrev_b32_e32 v59, 3, v45
	v_or_b32_e32 v79, 0x500, v234
	v_or_b32_e32 v78, 0x680, v234
	v_lshlrev_b32_e32 v68, 3, v79
	v_lshlrev_b32_e32 v72, 3, v78
	v_mov_b32_e32 v44, 0xffff9800
	v_or_b32_e32 v86, 0x280, v234
	v_or_b32_e32 v81, 0x400, v234
	;; [unrolled: 1-line block ×4, first 2 shown]
	v_lshlrev_b32_e32 v71, 3, v81
	v_lshlrev_b32_e32 v74, 3, v82
	v_mov_b32_e32 v177, 0xf0
	s_load_dwordx2 s[4:5], s[4:5], 0x38
	v_mad_u64_u32 v[4:5], s[0:1], s15, v4, v[1:2]
	s_mul_i32 s15, s12, 0xc00
	v_mad_u64_u32 v[5:6], s[0:1], s13, v234, v[3:4]
	v_mov_b32_e32 v1, v4
	v_lshlrev_b64 v[0:1], 3, v[0:1]
	v_mov_b32_e32 v3, v5
	v_add_co_u32_e32 v4, vcc, s18, v0
	v_addc_co_u32_e32 v5, vcc, v7, v1, vcc
	v_lshlrev_b64 v[0:1], 3, v[2:3]
	s_mul_i32 s0, s13, 0xc00
	v_add_co_u32_e32 v2, vcc, v4, v0
	v_lshlrev_b32_e32 v0, 3, v234
	global_load_dwordx2 v[66:67], v0, s[8:9]
	global_load_dwordx2 v[30:31], v0, s[8:9] offset:3072
	v_addc_co_u32_e32 v3, vcc, v5, v1, vcc
	s_add_i32 s14, s14, s0
	v_mov_b32_e32 v6, s14
	v_add_co_u32_e32 v1, vcc, s15, v2
	global_load_dwordx2 v[4:5], v[2:3], off
	v_addc_co_u32_e32 v2, vcc, v3, v6, vcc
	v_mov_b32_e32 v3, s14
	v_add_co_u32_e32 v6, vcc, s15, v1
	v_addc_co_u32_e32 v7, vcc, v2, v3, vcc
	global_load_dwordx2 v[8:9], v[1:2], off
	global_load_dwordx2 v[10:11], v[6:7], off
	v_lshlrev_b32_e32 v1, 3, v83
	v_or_b32_e32 v54, 0x3c00, v0
	v_or_b32_e32 v53, 0x4800, v0
	v_or_b32_e32 v55, 0x5400, v0
	buffer_store_dword v1, off, s[20:23], 0 offset:388 ; 4-byte Folded Spill
	global_load_dwordx2 v[64:65], v1, s[8:9]
	v_mov_b32_e32 v2, s14
	global_load_dwordx2 v[48:49], v54, s[8:9]
	global_load_dwordx2 v[42:43], v55, s[8:9]
	;; [unrolled: 1-line block ×3, first 2 shown]
	v_add_co_u32_e32 v1, vcc, s15, v6
	v_addc_co_u32_e32 v2, vcc, v7, v2, vcc
	global_load_dwordx2 v[6:7], v[1:2], off
	v_add_co_u32_e32 v1, vcc, s15, v1
	v_addc_co_u32_e32 v2, vcc, v2, v3, vcc
	global_load_dwordx2 v[12:13], v[1:2], off
	;; [unrolled: 3-line block ×6, first 2 shown]
	v_add_co_u32_e32 v1, vcc, s15, v1
	v_addc_co_u32_e32 v2, vcc, v2, v3, vcc
	v_mov_b32_e32 v3, 0xffff9800
	global_load_dwordx2 v[22:23], v[1:2], off
	v_mad_u64_u32 v[1:2], s[0:1], s12, v3, v[1:2]
	s_mul_i32 s0, s13, 0xffff9800
	s_sub_i32 s13, s0, s12
	v_or_b32_e32 v56, 0x6000, v0
	v_or_b32_e32 v58, 0x6c00, v0
	v_add_u32_e32 v2, s13, v2
	global_load_dwordx2 v[62:63], v217, s[8:9]
	global_load_dwordx2 v[60:61], v197, s[8:9]
	;; [unrolled: 1-line block ×4, first 2 shown]
	global_load_dwordx2 v[24:25], v[1:2], off
	global_load_dwordx2 v[36:37], v0, s[8:9] offset:1024
	v_mov_b32_e32 v3, s14
	v_add_co_u32_e32 v1, vcc, s15, v1
	v_addc_co_u32_e32 v2, vcc, v2, v3, vcc
	global_load_dwordx2 v[26:27], v[1:2], off
	v_add_co_u32_e32 v1, vcc, s15, v1
	v_addc_co_u32_e32 v2, vcc, v2, v3, vcc
	global_load_dwordx2 v[34:35], v57, s[8:9]
	global_load_dwordx2 v[32:33], v59, s[8:9]
	global_load_dwordx2 v[28:29], v[1:2], off
	s_load_dwordx4 s[0:3], s[2:3], 0x0
	global_load_dwordx2 v[50:51], v0, s[8:9] offset:2048
	s_waitcnt vmcnt(27)
	buffer_store_dword v66, off, s[20:23], 0 offset:232 ; 4-byte Folded Spill
	s_nop 0
	buffer_store_dword v67, off, s[20:23], 0 offset:236 ; 4-byte Folded Spill
	v_add_co_u32_e32 v1, vcc, s15, v1
	v_or_b32_e32 v69, 0x6400, v0
	v_or_b32_e32 v70, 0x4400, v0
	v_or_b32_e32 v73, 0x5000, v0
	v_or_b32_e32 v75, 0x5c00, v0
	s_waitcnt vmcnt(27)
	v_mul_f32_e32 v3, v5, v67
	v_fmac_f32_e32 v3, v4, v66
	v_mul_f32_e32 v4, v4, v67
	v_fma_f32 v4, v5, v66, -v4
	v_mov_b32_e32 v67, v31
	v_mov_b32_e32 v66, v30
	buffer_store_dword v66, off, s[20:23], 0 offset:224 ; 4-byte Folded Spill
	s_nop 0
	buffer_store_dword v67, off, s[20:23], 0 offset:228 ; 4-byte Folded Spill
	s_waitcnt vmcnt(25)
	buffer_store_dword v64, off, s[20:23], 0 offset:216 ; 4-byte Folded Spill
	s_nop 0
	buffer_store_dword v65, off, s[20:23], 0 offset:220 ; 4-byte Folded Spill
	s_waitcnt vmcnt(16)
	;; [unrolled: 4-line block ×3, first 2 shown]
	buffer_store_dword v60, off, s[20:23], 0 offset:192 ; 4-byte Folded Spill
	s_nop 0
	buffer_store_dword v61, off, s[20:23], 0 offset:196 ; 4-byte Folded Spill
	buffer_store_dword v48, off, s[20:23], 0 offset:176 ; 4-byte Folded Spill
	s_nop 0
	buffer_store_dword v49, off, s[20:23], 0 offset:180 ; 4-byte Folded Spill
	;; [unrolled: 3-line block ×4, first 2 shown]
	s_waitcnt vmcnt(23)
	buffer_store_dword v40, off, s[20:23], 0 offset:128 ; 4-byte Folded Spill
	s_nop 0
	buffer_store_dword v41, off, s[20:23], 0 offset:132 ; 4-byte Folded Spill
	buffer_store_dword v38, off, s[20:23], 0 offset:104 ; 4-byte Folded Spill
	s_nop 0
	buffer_store_dword v39, off, s[20:23], 0 offset:108 ; 4-byte Folded Spill
	s_waitcnt vmcnt(25)
	buffer_store_dword v36, off, s[20:23], 0 offset:96 ; 4-byte Folded Spill
	s_nop 0
	buffer_store_dword v37, off, s[20:23], 0 offset:100 ; 4-byte Folded Spill
	v_mul_f32_e32 v5, v8, v67
	v_fma_f32 v31, v9, v66, -v5
	v_mul_f32_e32 v5, v10, v65
	v_mul_f32_e32 v30, v9, v67
	v_fma_f32 v9, v11, v64, -v5
	v_mul_f32_e32 v5, v7, v63
	v_fmac_f32_e32 v30, v8, v66
	v_mul_f32_e32 v8, v11, v65
	v_fmac_f32_e32 v5, v6, v62
	;; [unrolled: 2-line block ×3, first 2 shown]
	v_fma_f32 v6, v7, v62, -v6
	v_mul_f32_e32 v10, v13, v61
	v_mul_f32_e32 v7, v12, v61
	v_fmac_f32_e32 v10, v12, v60
	v_fma_f32 v11, v13, v60, -v7
	v_mul_f32_e32 v12, v15, v49
	v_mul_f32_e32 v7, v14, v49
	v_fmac_f32_e32 v12, v14, v48
	;; [unrolled: 4-line block ×7, first 2 shown]
	v_fma_f32 v23, v25, v36, -v7
	ds_write2st64_b64 v0, v[3:4], v[22:23] offset1:2
	s_waitcnt vmcnt(25)
	buffer_store_dword v34, off, s[20:23], 0 offset:72 ; 4-byte Folded Spill
	s_nop 0
	buffer_store_dword v35, off, s[20:23], 0 offset:76 ; 4-byte Folded Spill
	s_waitcnt vmcnt(26)
	v_mov_b32_e32 v48, v33
	v_mov_b32_e32 v47, v32
	buffer_store_dword v47, off, s[20:23], 0 offset:200 ; 4-byte Folded Spill
	s_nop 0
	buffer_store_dword v48, off, s[20:23], 0 offset:204 ; 4-byte Folded Spill
	global_load_dwordx2 v[131:132], v68, s[8:9]
	global_load_dwordx2 v[121:122], v69, s[8:9]
	;; [unrolled: 1-line block ×4, first 2 shown]
	v_mov_b32_e32 v23, s14
	v_addc_co_u32_e32 v2, vcc, v2, v23, vcc
	global_load_dwordx2 v[24:25], v[1:2], off
	v_add_co_u32_e32 v1, vcc, s15, v1
	v_addc_co_u32_e32 v2, vcc, v2, v23, vcc
	s_waitcnt vmcnt(32)
	v_mul_f32_e32 v22, v29, v33
	v_fmac_f32_e32 v22, v28, v32
	v_mul_f32_e32 v7, v28, v33
	v_or_b32_e32 v61, 0x4000, v0
	v_or_b32_e32 v65, 0x4c00, v0
	;; [unrolled: 1-line block ×4, first 2 shown]
	v_lshlrev_b32_e32 v64, 3, v86
	v_lshlrev_b32_e32 v63, 3, v80
	v_or_b32_e32 v62, 0x6800, v0
	v_or_b32_e32 v66, 0x7400, v0
	global_load_dwordx2 v[127:128], v61, s[8:9]
	global_load_dwordx2 v[103:104], v62, s[8:9]
	;; [unrolled: 1-line block ×12, first 2 shown]
	v_or_b32_e32 v46, 0x80, v234
	v_mul_f32_e32 v3, v27, v35
	v_mul_f32_e32 v4, v26, v35
	v_fmac_f32_e32 v3, v26, v34
	v_fma_f32 v4, v27, v34, -v4
	global_load_dwordx2 v[26:27], v[1:2], off
	v_add_co_u32_e32 v1, vcc, s15, v1
	v_addc_co_u32_e32 v2, vcc, v2, v23, vcc
	global_load_dwordx2 v[32:33], v[1:2], off
	v_add_co_u32_e32 v1, vcc, s15, v1
	v_addc_co_u32_e32 v2, vcc, v2, v23, vcc
	;; [unrolled: 3-line block ×5, first 2 shown]
	v_mad_u64_u32 v[40:41], s[16:17], s12, v44, v[1:2]
	global_load_dwordx2 v[1:2], v[1:2], off
	v_add_u32_e32 v41, s13, v41
	global_load_dwordx2 v[42:43], v[40:41], off
	v_add_co_u32_e32 v40, vcc, s15, v40
	v_addc_co_u32_e32 v41, vcc, v41, v23, vcc
	global_load_dwordx2 v[48:49], v[40:41], off
	v_add_co_u32_e32 v40, vcc, s15, v40
	v_addc_co_u32_e32 v41, vcc, v41, v23, vcc
	;; [unrolled: 3-line block ×9, first 2 shown]
	v_fma_f32 v23, v29, v47, -v7
	global_load_dwordx2 v[40:41], v[40:41], off
	ds_write2st64_b64 v0, v[8:9], v[22:23] offset0:12 offset1:14
	s_waitcnt vmcnt(32)
	buffer_store_dword v131, off, s[20:23], 0 offset:184 ; 4-byte Folded Spill
	s_nop 0
	buffer_store_dword v132, off, s[20:23], 0 offset:188 ; 4-byte Folded Spill
	s_waitcnt vmcnt(31)
	buffer_store_dword v129, off, s[20:23], 0 offset:168 ; 4-byte Folded Spill
	s_nop 0
	buffer_store_dword v130, off, s[20:23], 0 offset:172 ; 4-byte Folded Spill
	v_or_b32_e32 v47, 0x100, v234
	s_waitcnt vmcnt(32)
	v_mul_f32_e32 v7, v25, v132
	s_waitcnt vmcnt(19)
	v_mul_f32_e32 v22, v27, v130
	v_mul_f32_e32 v9, v26, v130
	v_fmac_f32_e32 v22, v26, v129
	v_fma_f32 v23, v27, v129, -v9
	ds_write2st64_b64 v0, v[10:11], v[22:23] offset0:24 offset1:26
	buffer_store_dword v127, off, s[20:23], 0 offset:152 ; 4-byte Folded Spill
	s_nop 0
	buffer_store_dword v128, off, s[20:23], 0 offset:156 ; 4-byte Folded Spill
	buffer_store_dword v125, off, s[20:23], 0 offset:136 ; 4-byte Folded Spill
	s_nop 0
	buffer_store_dword v126, off, s[20:23], 0 offset:140 ; 4-byte Folded Spill
	v_mul_f32_e32 v8, v24, v132
	v_fmac_f32_e32 v7, v24, v131
	v_fma_f32 v8, v25, v131, -v8
	s_waitcnt vmcnt(22)
	v_mul_f32_e32 v9, v33, v128
	s_waitcnt vmcnt(21)
	v_mul_f32_e32 v22, v35, v126
	v_mul_f32_e32 v11, v34, v126
	v_fmac_f32_e32 v22, v34, v125
	v_fma_f32 v23, v35, v125, -v11
	ds_write2st64_b64 v0, v[14:15], v[22:23] offset0:36 offset1:38
	buffer_store_dword v123, off, s[20:23], 0 offset:120 ; 4-byte Folded Spill
	s_nop 0
	buffer_store_dword v124, off, s[20:23], 0 offset:124 ; 4-byte Folded Spill
	buffer_store_dword v121, off, s[20:23], 0 offset:112 ; 4-byte Folded Spill
	s_nop 0
	buffer_store_dword v122, off, s[20:23], 0 offset:116 ; 4-byte Folded Spill
	v_mul_f32_e32 v10, v32, v128
	v_fmac_f32_e32 v9, v32, v127
	v_fma_f32 v10, v33, v127, -v10
	s_waitcnt vmcnt(24)
	v_mul_f32_e32 v11, v36, v124
	v_fma_f32 v15, v37, v123, -v11
	s_waitcnt vmcnt(23)
	v_mul_f32_e32 v22, v39, v122
	v_mul_f32_e32 v11, v38, v122
	v_fmac_f32_e32 v22, v38, v121
	v_fma_f32 v23, v39, v121, -v11
	ds_write2st64_b64 v0, v[18:19], v[22:23] offset0:48 offset1:50
	buffer_store_dword v119, off, s[20:23], 0 offset:88 ; 4-byte Folded Spill
	s_nop 0
	buffer_store_dword v120, off, s[20:23], 0 offset:92 ; 4-byte Folded Spill
	buffer_store_dword v50, off, s[20:23], 0 offset:80 ; 4-byte Folded Spill
	s_nop 0
	buffer_store_dword v51, off, s[20:23], 0 offset:84 ; 4-byte Folded Spill
	v_mul_f32_e32 v14, v37, v124
	v_fmac_f32_e32 v14, v36, v123
	s_waitcnt vmcnt(26)
	v_mul_f32_e32 v18, v2, v120
	v_fmac_f32_e32 v18, v1, v119
	v_mul_f32_e32 v1, v1, v120
	v_fma_f32 v19, v2, v119, -v1
	s_waitcnt vmcnt(25)
	v_mul_f32_e32 v1, v43, v51
	v_mul_f32_e32 v2, v42, v51
	v_fmac_f32_e32 v1, v42, v50
	v_fma_f32 v2, v43, v50, -v2
	ds_write2st64_b64 v0, v[1:2], v[30:31] offset0:4 offset1:6
	buffer_store_dword v117, off, s[20:23], 0 offset:64 ; 4-byte Folded Spill
	s_nop 0
	buffer_store_dword v118, off, s[20:23], 0 offset:68 ; 4-byte Folded Spill
	s_waitcnt vmcnt(26)
	v_mul_f32_e32 v1, v49, v118
	v_mul_f32_e32 v2, v48, v118
	v_fmac_f32_e32 v1, v48, v117
	v_fma_f32 v2, v49, v117, -v2
	ds_write2st64_b64 v0, v[3:4], v[1:2] offset0:8 offset1:10
	buffer_store_dword v115, off, s[20:23], 0 offset:56 ; 4-byte Folded Spill
	s_nop 0
	buffer_store_dword v116, off, s[20:23], 0 offset:60 ; 4-byte Folded Spill
	;; [unrolled: 9-line block ×8, first 2 shown]
	s_waitcnt vmcnt(33)
	v_mul_f32_e32 v1, v100, v104
	v_mul_f32_e32 v2, v99, v104
	v_fmac_f32_e32 v1, v99, v103
	v_fma_f32 v2, v100, v103, -v2
	ds_write2st64_b64 v0, v[1:2], v[20:21] offset0:52 offset1:54
	buffer_store_dword v101, off, s[20:23], 0 ; 4-byte Folded Spill
	s_nop 0
	buffer_store_dword v102, off, s[20:23], 0 offset:4 ; 4-byte Folded Spill
	s_waitcnt vmcnt(34)
	v_mul_f32_e32 v1, v41, v102
	v_mul_f32_e32 v2, v40, v102
	v_fmac_f32_e32 v1, v40, v101
	v_fma_f32 v2, v41, v101, -v2
	ds_write2st64_b64 v0, v[18:19], v[1:2] offset0:56 offset1:58
	s_waitcnt vmcnt(0) lgkmcnt(0)
	s_barrier
	ds_read2st64_b64 v[33:36], v0 offset1:2
	ds_read2st64_b64 v[1:4], v0 offset0:4 offset1:6
	ds_read2st64_b64 v[37:40], v0 offset0:12 offset1:14
	ds_read2st64_b64 v[25:28], v0 offset0:16 offset1:18
	ds_read2st64_b64 v[41:44], v0 offset0:24 offset1:26
	ds_read2st64_b64 v[29:32], v0 offset0:28 offset1:30
	ds_read2st64_b64 v[87:90], v0 offset0:36 offset1:38
	ds_read2st64_b64 v[91:94], v0 offset0:40 offset1:42
	ds_read2st64_b64 v[95:98], v0 offset0:48 offset1:50
	ds_read2st64_b64 v[99:102], v0 offset0:52 offset1:54
	ds_read2st64_b64 v[5:8], v0 offset0:8 offset1:10
	ds_read2st64_b64 v[9:12], v0 offset0:20 offset1:22
	ds_read2st64_b64 v[13:16], v0 offset0:32 offset1:34
	ds_read2st64_b64 v[17:20], v0 offset0:44 offset1:46
	ds_read2st64_b64 v[21:24], v0 offset0:56 offset1:58
	s_waitcnt lgkmcnt(8)
	v_add_f32_e32 v49, v41, v87
	v_fma_f32 v49, -0.5, v49, v33
	s_waitcnt lgkmcnt(6)
	v_sub_f32_e32 v50, v38, v96
	v_mov_b32_e32 v51, v49
	v_fmac_f32_e32 v51, 0x3f737871, v50
	v_sub_f32_e32 v52, v42, v88
	v_sub_f32_e32 v85, v37, v41
	v_sub_f32_e32 v103, v95, v87
	v_fmac_f32_e32 v49, 0xbf737871, v50
	v_fmac_f32_e32 v51, 0x3f167918, v52
	v_add_f32_e32 v85, v85, v103
	v_fmac_f32_e32 v49, 0xbf167918, v52
	v_fmac_f32_e32 v51, 0x3e9e377a, v85
	;; [unrolled: 1-line block ×3, first 2 shown]
	v_add_f32_e32 v85, v37, v95
	v_fma_f32 v85, -0.5, v85, v33
	v_mov_b32_e32 v104, v85
	v_add_f32_e32 v48, v33, v37
	v_fmac_f32_e32 v104, 0xbf737871, v52
	v_sub_f32_e32 v33, v41, v37
	v_sub_f32_e32 v103, v87, v95
	v_fmac_f32_e32 v85, 0x3f737871, v52
	v_fmac_f32_e32 v104, 0x3f167918, v50
	v_add_f32_e32 v33, v33, v103
	v_fmac_f32_e32 v85, 0xbf167918, v50
	v_fmac_f32_e32 v104, 0x3e9e377a, v33
	;; [unrolled: 1-line block ×3, first 2 shown]
	v_add_f32_e32 v33, v34, v38
	v_add_f32_e32 v33, v33, v42
	;; [unrolled: 1-line block ×6, first 2 shown]
	v_fma_f32 v52, -0.5, v33, v34
	v_add_f32_e32 v48, v48, v87
	v_sub_f32_e32 v33, v37, v95
	v_mov_b32_e32 v37, v52
	v_add_f32_e32 v48, v48, v95
	v_fmac_f32_e32 v37, 0xbf737871, v33
	v_sub_f32_e32 v41, v41, v87
	v_sub_f32_e32 v87, v38, v42
	;; [unrolled: 1-line block ×3, first 2 shown]
	v_fmac_f32_e32 v52, 0x3f737871, v33
	v_fmac_f32_e32 v37, 0xbf167918, v41
	v_add_f32_e32 v87, v87, v95
	v_fmac_f32_e32 v52, 0x3f167918, v41
	v_fmac_f32_e32 v37, 0x3e9e377a, v87
	;; [unrolled: 1-line block ×3, first 2 shown]
	v_add_f32_e32 v87, v38, v96
	v_fma_f32 v87, -0.5, v87, v34
	v_mov_b32_e32 v108, v87
	v_fmac_f32_e32 v108, 0x3f737871, v41
	v_fmac_f32_e32 v87, 0xbf737871, v41
	;; [unrolled: 1-line block ×4, first 2 shown]
	v_add_f32_e32 v33, v3, v27
	v_add_f32_e32 v33, v33, v31
	v_sub_f32_e32 v34, v42, v38
	v_sub_f32_e32 v38, v88, v96
	v_add_f32_e32 v33, v33, v93
	v_add_f32_e32 v34, v34, v38
	s_waitcnt lgkmcnt(5)
	v_add_f32_e32 v38, v33, v101
	v_add_f32_e32 v33, v31, v93
	v_fma_f32 v41, -0.5, v33, v3
	v_fmac_f32_e32 v108, 0x3e9e377a, v34
	v_fmac_f32_e32 v87, 0x3e9e377a, v34
	v_sub_f32_e32 v33, v28, v102
	v_mov_b32_e32 v34, v41
	v_fmac_f32_e32 v34, 0x3f737871, v33
	v_sub_f32_e32 v42, v32, v94
	v_sub_f32_e32 v88, v27, v31
	;; [unrolled: 1-line block ×3, first 2 shown]
	v_fmac_f32_e32 v41, 0xbf737871, v33
	v_fmac_f32_e32 v34, 0x3f167918, v42
	v_add_f32_e32 v88, v88, v95
	v_fmac_f32_e32 v41, 0xbf167918, v42
	v_fmac_f32_e32 v34, 0x3e9e377a, v88
	;; [unrolled: 1-line block ×3, first 2 shown]
	v_add_f32_e32 v88, v27, v101
	v_fma_f32 v3, -0.5, v88, v3
	v_mov_b32_e32 v88, v3
	v_fmac_f32_e32 v88, 0xbf737871, v42
	v_fmac_f32_e32 v3, 0x3f737871, v42
	;; [unrolled: 1-line block ×4, first 2 shown]
	v_add_f32_e32 v33, v4, v28
	v_add_f32_e32 v33, v33, v32
	;; [unrolled: 1-line block ×5, first 2 shown]
	v_sub_f32_e32 v95, v31, v27
	v_sub_f32_e32 v96, v93, v101
	v_fma_f32 v103, -0.5, v33, v4
	v_add_f32_e32 v95, v95, v96
	v_sub_f32_e32 v27, v27, v101
	v_mov_b32_e32 v96, v103
	v_fmac_f32_e32 v96, 0xbf737871, v27
	v_sub_f32_e32 v31, v31, v93
	v_sub_f32_e32 v33, v28, v32
	;; [unrolled: 1-line block ×3, first 2 shown]
	v_fmac_f32_e32 v103, 0x3f737871, v27
	v_fmac_f32_e32 v96, 0xbf167918, v31
	v_add_f32_e32 v33, v33, v93
	v_fmac_f32_e32 v103, 0x3f167918, v31
	v_fmac_f32_e32 v96, 0x3e9e377a, v33
	;; [unrolled: 1-line block ×3, first 2 shown]
	v_add_f32_e32 v33, v28, v102
	v_fma_f32 v4, -0.5, v33, v4
	v_mov_b32_e32 v105, v4
	v_sub_f32_e32 v28, v32, v28
	v_sub_f32_e32 v32, v94, v102
	v_fmac_f32_e32 v4, 0xbf737871, v31
	v_fmac_f32_e32 v3, 0x3e9e377a, v95
	v_add_f32_e32 v28, v28, v32
	v_fmac_f32_e32 v4, 0x3f167918, v27
	v_fmac_f32_e32 v4, 0x3e9e377a, v28
	v_mul_f32_e32 v106, 0xbe9e377a, v3
	v_fmac_f32_e32 v106, 0x3f737871, v4
	v_mul_f32_e32 v4, 0xbe9e377a, v4
	;; [unrolled: 2-line block ×4, first 2 shown]
	v_fmac_f32_e32 v105, 0xbf167918, v27
	v_fmac_f32_e32 v112, 0x3f4f1bbd, v96
	;; [unrolled: 1-line block ×5, first 2 shown]
	v_mul_f32_e32 v27, 0x3f4f1bbd, v34
	v_add_f32_e32 v95, v85, v106
	v_add_f32_e32 v34, v37, v112
	;; [unrolled: 1-line block ×3, first 2 shown]
	v_sub_f32_e32 v109, v85, v106
	v_sub_f32_e32 v106, v37, v112
	;; [unrolled: 1-line block ×3, first 2 shown]
	v_add_f32_e32 v3, v35, v39
	v_mul_f32_e32 v28, 0x3f737871, v105
	v_add_f32_e32 v3, v3, v43
	v_fmac_f32_e32 v27, 0x3f167918, v96
	v_fmac_f32_e32 v28, 0x3e9e377a, v88
	v_mul_f32_e32 v88, 0xbf737871, v88
	v_add_f32_e32 v3, v3, v89
	v_add_f32_e32 v33, v51, v27
	v_fmac_f32_e32 v88, 0x3e9e377a, v105
	v_sub_f32_e32 v105, v51, v27
	v_add_f32_e32 v27, v3, v97
	v_add_f32_e32 v3, v43, v89
	;; [unrolled: 1-line block ×3, first 2 shown]
	v_mul_f32_e32 v110, 0xbf4f1bbd, v41
	v_sub_f32_e32 v107, v104, v28
	v_fma_f32 v28, -0.5, v3, v35
	v_add_f32_e32 v31, v48, v38
	v_fmac_f32_e32 v110, 0x3f167918, v103
	v_sub_f32_e32 v103, v48, v38
	v_sub_f32_e32 v3, v40, v98
	v_mov_b32_e32 v48, v28
	v_add_f32_e32 v101, v49, v110
	v_add_f32_e32 v96, v87, v4
	v_sub_f32_e32 v111, v49, v110
	v_sub_f32_e32 v110, v87, v4
	v_fmac_f32_e32 v48, 0x3f737871, v3
	v_sub_f32_e32 v4, v44, v90
	v_sub_f32_e32 v37, v39, v43
	v_sub_f32_e32 v38, v97, v89
	v_fmac_f32_e32 v28, 0xbf737871, v3
	v_fmac_f32_e32 v48, 0x3f167918, v4
	v_add_f32_e32 v37, v37, v38
	v_fmac_f32_e32 v28, 0xbf167918, v4
	v_fmac_f32_e32 v48, 0x3e9e377a, v37
	;; [unrolled: 1-line block ×3, first 2 shown]
	v_add_f32_e32 v37, v39, v97
	v_fma_f32 v35, -0.5, v37, v35
	v_mov_b32_e32 v49, v35
	v_fmac_f32_e32 v49, 0xbf737871, v4
	v_fmac_f32_e32 v35, 0x3f737871, v4
	;; [unrolled: 1-line block ×4, first 2 shown]
	v_add_f32_e32 v3, v36, v40
	v_add_f32_e32 v3, v3, v44
	;; [unrolled: 1-line block ×4, first 2 shown]
	v_sub_f32_e32 v104, v50, v42
	v_add_f32_e32 v50, v3, v98
	v_add_f32_e32 v3, v44, v90
	v_sub_f32_e32 v37, v43, v39
	v_sub_f32_e32 v38, v89, v97
	v_fma_f32 v51, -0.5, v3, v36
	v_add_f32_e32 v37, v37, v38
	v_sub_f32_e32 v3, v39, v97
	v_mov_b32_e32 v52, v51
	v_fmac_f32_e32 v49, 0x3e9e377a, v37
	v_fmac_f32_e32 v35, 0x3e9e377a, v37
	;; [unrolled: 1-line block ×3, first 2 shown]
	v_sub_f32_e32 v4, v43, v89
	v_sub_f32_e32 v37, v40, v44
	;; [unrolled: 1-line block ×3, first 2 shown]
	v_fmac_f32_e32 v51, 0x3f737871, v3
	v_fmac_f32_e32 v52, 0xbf167918, v4
	v_add_f32_e32 v37, v37, v38
	v_fmac_f32_e32 v51, 0x3f167918, v4
	v_fmac_f32_e32 v52, 0x3e9e377a, v37
	;; [unrolled: 1-line block ×3, first 2 shown]
	v_add_f32_e32 v37, v40, v98
	v_fmac_f32_e32 v36, -0.5, v37
	v_mov_b32_e32 v85, v36
	v_fmac_f32_e32 v85, 0x3f737871, v4
	v_fmac_f32_e32 v36, 0xbf737871, v4
	;; [unrolled: 1-line block ×4, first 2 shown]
	s_waitcnt lgkmcnt(3)
	v_add_f32_e32 v3, v5, v9
	s_waitcnt lgkmcnt(2)
	v_add_f32_e32 v3, v3, v13
	s_waitcnt lgkmcnt(1)
	v_add_f32_e32 v3, v3, v17
	s_waitcnt lgkmcnt(0)
	v_add_f32_e32 v43, v3, v21
	v_add_f32_e32 v3, v13, v17
	v_sub_f32_e32 v37, v44, v40
	v_sub_f32_e32 v38, v90, v98
	v_fma_f32 v42, -0.5, v3, v5
	v_add_f32_e32 v37, v37, v38
	v_sub_f32_e32 v3, v10, v22
	v_mov_b32_e32 v38, v42
	v_fmac_f32_e32 v85, 0x3e9e377a, v37
	v_fmac_f32_e32 v36, 0x3e9e377a, v37
	v_fmac_f32_e32 v38, 0x3f737871, v3
	v_sub_f32_e32 v4, v14, v18
	v_sub_f32_e32 v37, v9, v13
	;; [unrolled: 1-line block ×3, first 2 shown]
	v_fmac_f32_e32 v42, 0xbf737871, v3
	v_fmac_f32_e32 v38, 0x3f167918, v4
	v_add_f32_e32 v37, v37, v39
	v_fmac_f32_e32 v42, 0xbf167918, v4
	v_fmac_f32_e32 v38, 0x3e9e377a, v37
	;; [unrolled: 1-line block ×3, first 2 shown]
	v_add_f32_e32 v37, v9, v21
	v_fma_f32 v40, -0.5, v37, v5
	v_mov_b32_e32 v44, v40
	v_fmac_f32_e32 v44, 0xbf737871, v4
	v_fmac_f32_e32 v40, 0x3f737871, v4
	;; [unrolled: 1-line block ×4, first 2 shown]
	v_add_f32_e32 v3, v6, v10
	v_add_f32_e32 v3, v3, v14
	;; [unrolled: 1-line block ×4, first 2 shown]
	v_sub_f32_e32 v108, v108, v88
	v_add_f32_e32 v88, v3, v22
	v_add_f32_e32 v3, v14, v18
	v_sub_f32_e32 v5, v13, v9
	v_sub_f32_e32 v37, v17, v21
	v_fma_f32 v87, -0.5, v3, v6
	v_add_f32_e32 v5, v5, v37
	v_sub_f32_e32 v3, v9, v21
	v_mov_b32_e32 v9, v87
	v_fmac_f32_e32 v44, 0x3e9e377a, v5
	v_fmac_f32_e32 v40, 0x3e9e377a, v5
	;; [unrolled: 1-line block ×3, first 2 shown]
	v_sub_f32_e32 v4, v13, v17
	v_sub_f32_e32 v5, v10, v14
	;; [unrolled: 1-line block ×3, first 2 shown]
	v_fmac_f32_e32 v87, 0x3f737871, v3
	v_fmac_f32_e32 v9, 0xbf167918, v4
	v_add_f32_e32 v5, v5, v13
	v_fmac_f32_e32 v87, 0x3f167918, v4
	v_fmac_f32_e32 v9, 0x3e9e377a, v5
	;; [unrolled: 1-line block ×3, first 2 shown]
	v_add_f32_e32 v5, v10, v22
	v_fma_f32 v13, -0.5, v5, v6
	v_mov_b32_e32 v17, v13
	v_fmac_f32_e32 v17, 0x3f737871, v4
	v_sub_f32_e32 v5, v14, v10
	v_sub_f32_e32 v6, v18, v22
	v_fmac_f32_e32 v17, 0xbf167918, v3
	v_add_f32_e32 v5, v5, v6
	v_mul_f32_e32 v10, 0x3f4f1bbd, v38
	v_mul_f32_e32 v22, 0xbf167918, v38
	v_fmac_f32_e32 v17, 0x3e9e377a, v5
	v_fmac_f32_e32 v10, 0x3f167918, v9
	;; [unrolled: 1-line block ×3, first 2 shown]
	v_mul_f32_e32 v9, 0xbf737871, v44
	v_fmac_f32_e32 v9, 0x3e9e377a, v17
	v_add_f32_e32 v38, v85, v9
	v_sub_f32_e32 v90, v85, v9
	v_add_f32_e32 v9, v1, v25
	v_fmac_f32_e32 v13, 0xbf737871, v4
	v_mul_f32_e32 v21, 0xbf4f1bbd, v42
	v_add_f32_e32 v9, v9, v29
	v_fmac_f32_e32 v13, 0x3f167918, v3
	v_fmac_f32_e32 v21, 0x3f167918, v87
	v_add_f32_e32 v9, v9, v91
	v_fmac_f32_e32 v13, 0x3e9e377a, v5
	v_mul_f32_e32 v14, 0x3f737871, v17
	v_mul_f32_e32 v18, 0xbe9e377a, v40
	v_add_f32_e32 v41, v28, v21
	v_sub_f32_e32 v115, v28, v21
	v_add_f32_e32 v21, v9, v99
	v_add_f32_e32 v9, v29, v91
	v_fmac_f32_e32 v14, 0x3e9e377a, v44
	v_fmac_f32_e32 v18, 0x3f737871, v13
	v_add_f32_e32 v4, v50, v88
	v_add_f32_e32 v6, v52, v22
	v_mul_f32_e32 v13, 0xbe9e377a, v13
	v_sub_f32_e32 v44, v50, v88
	v_sub_f32_e32 v88, v52, v22
	v_fma_f32 v22, -0.5, v9, v1
	v_add_f32_e32 v3, v27, v43
	v_fmac_f32_e32 v13, 0xbf737871, v40
	v_sub_f32_e32 v43, v27, v43
	v_sub_f32_e32 v9, v26, v100
	v_mov_b32_e32 v27, v22
	v_add_f32_e32 v5, v48, v10
	v_add_f32_e32 v37, v49, v14
	v_add_f32_e32 v40, v36, v13
	v_mul_f32_e32 v17, 0xbf4f1bbd, v87
	v_sub_f32_e32 v87, v48, v10
	v_sub_f32_e32 v89, v49, v14
	;; [unrolled: 1-line block ×3, first 2 shown]
	v_fmac_f32_e32 v27, 0x3f737871, v9
	v_sub_f32_e32 v10, v30, v92
	v_sub_f32_e32 v13, v25, v29
	;; [unrolled: 1-line block ×3, first 2 shown]
	v_fmac_f32_e32 v22, 0xbf737871, v9
	v_fmac_f32_e32 v27, 0x3f167918, v10
	v_add_f32_e32 v13, v13, v14
	v_fmac_f32_e32 v22, 0xbf167918, v10
	v_fmac_f32_e32 v27, 0x3e9e377a, v13
	v_fmac_f32_e32 v22, 0x3e9e377a, v13
	v_add_f32_e32 v13, v25, v99
	v_fma_f32 v1, -0.5, v13, v1
	v_mov_b32_e32 v28, v1
	v_fmac_f32_e32 v28, 0xbf737871, v10
	v_fmac_f32_e32 v1, 0x3f737871, v10
	;; [unrolled: 1-line block ×4, first 2 shown]
	v_add_f32_e32 v9, v2, v26
	v_add_f32_e32 v9, v9, v30
	;; [unrolled: 1-line block ×4, first 2 shown]
	v_sub_f32_e32 v113, v35, v18
	v_add_f32_e32 v35, v9, v100
	v_add_f32_e32 v9, v30, v92
	v_sub_f32_e32 v13, v29, v25
	v_sub_f32_e32 v14, v91, v99
	v_fma_f32 v36, -0.5, v9, v2
	v_add_f32_e32 v13, v13, v14
	v_sub_f32_e32 v9, v25, v99
	v_mov_b32_e32 v48, v36
	v_fmac_f32_e32 v28, 0x3e9e377a, v13
	v_fmac_f32_e32 v1, 0x3e9e377a, v13
	;; [unrolled: 1-line block ×3, first 2 shown]
	v_sub_f32_e32 v10, v29, v91
	v_sub_f32_e32 v13, v26, v30
	;; [unrolled: 1-line block ×3, first 2 shown]
	v_fmac_f32_e32 v36, 0x3f737871, v9
	v_fmac_f32_e32 v48, 0xbf167918, v10
	v_add_f32_e32 v13, v13, v14
	v_fmac_f32_e32 v36, 0x3f167918, v10
	v_fmac_f32_e32 v48, 0x3e9e377a, v13
	;; [unrolled: 1-line block ×3, first 2 shown]
	v_add_f32_e32 v13, v26, v100
	v_fmac_f32_e32 v2, -0.5, v13
	v_mov_b32_e32 v29, v2
	v_fmac_f32_e32 v29, 0x3f737871, v10
	v_fmac_f32_e32 v2, 0xbf737871, v10
	;; [unrolled: 1-line block ×4, first 2 shown]
	v_add_f32_e32 v9, v7, v11
	v_add_f32_e32 v9, v9, v15
	;; [unrolled: 1-line block ×5, first 2 shown]
	v_sub_f32_e32 v13, v30, v26
	v_sub_f32_e32 v14, v92, v100
	v_fma_f32 v18, -0.5, v9, v7
	v_fmac_f32_e32 v17, 0xbf167918, v42
	v_add_f32_e32 v13, v13, v14
	v_sub_f32_e32 v9, v12, v24
	v_mov_b32_e32 v14, v18
	v_add_f32_e32 v42, v51, v17
	v_sub_f32_e32 v116, v51, v17
	v_fmac_f32_e32 v29, 0x3e9e377a, v13
	v_fmac_f32_e32 v2, 0x3e9e377a, v13
	v_fmac_f32_e32 v14, 0x3f737871, v9
	v_sub_f32_e32 v10, v16, v20
	v_sub_f32_e32 v13, v11, v15
	;; [unrolled: 1-line block ×3, first 2 shown]
	v_fmac_f32_e32 v18, 0xbf737871, v9
	v_fmac_f32_e32 v14, 0x3f167918, v10
	v_add_f32_e32 v13, v13, v17
	v_fmac_f32_e32 v18, 0xbf167918, v10
	v_fmac_f32_e32 v14, 0x3e9e377a, v13
	;; [unrolled: 1-line block ×3, first 2 shown]
	v_add_f32_e32 v13, v11, v23
	v_fma_f32 v7, -0.5, v13, v7
	v_mov_b32_e32 v26, v7
	v_fmac_f32_e32 v26, 0xbf737871, v10
	v_fmac_f32_e32 v7, 0x3f737871, v10
	;; [unrolled: 1-line block ×4, first 2 shown]
	v_add_f32_e32 v9, v8, v12
	v_add_f32_e32 v9, v9, v16
	;; [unrolled: 1-line block ×5, first 2 shown]
	v_sub_f32_e32 v13, v15, v11
	v_sub_f32_e32 v17, v19, v23
	v_fma_f32 v49, -0.5, v9, v8
	v_add_f32_e32 v13, v13, v17
	v_sub_f32_e32 v9, v11, v23
	v_mov_b32_e32 v23, v49
	v_fmac_f32_e32 v26, 0x3e9e377a, v13
	v_fmac_f32_e32 v7, 0x3e9e377a, v13
	;; [unrolled: 1-line block ×3, first 2 shown]
	v_sub_f32_e32 v10, v15, v19
	v_sub_f32_e32 v11, v12, v16
	;; [unrolled: 1-line block ×3, first 2 shown]
	v_fmac_f32_e32 v49, 0x3f737871, v9
	v_fmac_f32_e32 v23, 0xbf167918, v10
	v_add_f32_e32 v11, v11, v13
	v_fmac_f32_e32 v49, 0x3f167918, v10
	v_fmac_f32_e32 v23, 0x3e9e377a, v11
	;; [unrolled: 1-line block ×3, first 2 shown]
	v_add_f32_e32 v11, v12, v24
	v_fmac_f32_e32 v8, -0.5, v11
	v_mov_b32_e32 v19, v8
	v_fmac_f32_e32 v19, 0x3f737871, v10
	v_sub_f32_e32 v11, v16, v12
	v_sub_f32_e32 v12, v20, v24
	v_fmac_f32_e32 v19, 0xbf167918, v9
	v_add_f32_e32 v11, v11, v12
	v_fmac_f32_e32 v8, 0xbf737871, v10
	v_fmac_f32_e32 v19, 0x3e9e377a, v11
	;; [unrolled: 1-line block ×4, first 2 shown]
	v_mul_f32_e32 v24, 0x3f737871, v19
	v_mul_f32_e32 v50, 0xbe9e377a, v7
	v_fmac_f32_e32 v24, 0x3e9e377a, v26
	v_fmac_f32_e32 v50, 0x3f737871, v8
	v_mul_f32_e32 v26, 0xbf737871, v26
	v_add_f32_e32 v9, v21, v25
	v_add_f32_e32 v15, v1, v50
	v_fmac_f32_e32 v26, 0x3e9e377a, v19
	v_sub_f32_e32 v19, v21, v25
	v_sub_f32_e32 v25, v1, v50
	v_mul_u32_u24_e32 v1, 10, v234
	v_lshlrev_b32_e32 v216, 3, v1
	v_mul_u32_u24_e32 v1, 10, v46
	v_mul_f32_e32 v20, 0x3f4f1bbd, v14
	v_mul_f32_e32 v52, 0xbf167918, v14
	v_mul_f32_e32 v8, 0xbe9e377a, v8
	v_lshlrev_b32_e32 v1, 3, v1
	v_fmac_f32_e32 v20, 0x3f167918, v23
	v_mul_f32_e32 v51, 0xbf4f1bbd, v18
	v_fmac_f32_e32 v52, 0x3f4f1bbd, v23
	v_fmac_f32_e32 v8, 0xbf737871, v7
	v_mul_f32_e32 v7, 0xbf4f1bbd, v49
	s_barrier
	ds_write_b128 v216, v[31:34]
	ds_write_b128 v216, v[93:96] offset:16
	ds_write_b128 v216, v[101:104] offset:32
	;; [unrolled: 1-line block ×4, first 2 shown]
	buffer_store_dword v1, off, s[20:23], 0 offset:568 ; 4-byte Folded Spill
	ds_write_b128 v1, v[3:6]
	ds_write_b128 v1, v[37:40] offset:16
	ds_write_b128 v1, v[41:44] offset:32
	;; [unrolled: 1-line block ×4, first 2 shown]
	v_mul_u32_u24_e32 v1, 10, v47
	v_add_f32_e32 v11, v27, v20
	v_fmac_f32_e32 v51, 0x3f167918, v49
	v_add_f32_e32 v10, v35, v30
	v_add_f32_e32 v12, v48, v52
	v_fmac_f32_e32 v7, 0xbf167918, v18
	v_lshlrev_b32_e32 v1, 3, v1
	v_add_f32_e32 v13, v28, v24
	v_add_f32_e32 v17, v22, v51
	;; [unrolled: 1-line block ×5, first 2 shown]
	v_sub_f32_e32 v21, v27, v20
	v_sub_f32_e32 v23, v28, v24
	;; [unrolled: 1-line block ×8, first 2 shown]
	buffer_store_dword v1, off, s[20:23], 0 offset:452 ; 4-byte Folded Spill
	ds_write_b128 v1, v[9:12]
	ds_write_b128 v1, v[13:16] offset:16
	ds_write_b128 v1, v[17:20] offset:32
	ds_write_b128 v1, v[21:24] offset:48
	ds_write_b128 v1, v[25:28] offset:64
	v_mul_lo_u16_e32 v1, 0x67, v234
	v_lshrrev_b16_e32 v49, 10, v1
	v_mul_lo_u16_e32 v1, 10, v49
	v_sub_u16_e32 v1, v234, v1
	v_and_b32_e32 v87, 0xff, v1
	v_mad_u64_u32 v[1:2], s[8:9], v87, 40, s[10:11]
	s_waitcnt vmcnt(0) lgkmcnt(0)
	s_barrier
	global_load_dwordx4 v[178:181], v[1:2], off
	global_load_dwordx4 v[101:104], v[1:2], off offset:16
	global_load_dwordx2 v[9:10], v[1:2], off offset:32
	v_mul_lo_u16_e32 v3, 0xcd, v46
	v_lshrrev_b16_e32 v88, 11, v3
	v_mul_lo_u16_e32 v3, 10, v88
	v_sub_u16_e32 v3, v46, v3
	v_and_b32_e32 v89, 0xff, v3
	v_mad_u64_u32 v[1:2], s[8:9], v89, 40, s[10:11]
	ds_read2st64_b64 v[92:95], v0 offset1:2
	v_mov_b32_e32 v85, s11
	global_load_dwordx4 v[222:225], v[1:2], off
	global_load_dwordx2 v[11:12], v[1:2], off offset:32
	global_load_dwordx4 v[13:16], v[1:2], off offset:16
	v_mul_u32_u24_e32 v1, 0x199a, v47
	v_lshrrev_b32_e32 v1, 16, v1
	v_mul_lo_u16_e32 v2, 10, v1
	v_sub_u16_e32 v2, v47, v2
	v_mul_lo_u16_e32 v3, 40, v2
	v_add_co_u32_e32 v3, vcc, s10, v3
	v_or_b32_e32 v48, 0x180, v234
	v_addc_co_u32_e32 v4, vcc, 0, v85, vcc
	global_load_dwordx4 v[21:24], v[3:4], off offset:16
	global_load_dwordx4 v[17:20], v[3:4], off
	ds_read2st64_b64 v[41:44], v0 offset0:8 offset1:10
	ds_read2st64_b64 v[96:99], v0 offset0:20 offset1:22
	;; [unrolled: 1-line block ×9, first 2 shown]
	global_load_dwordx2 v[153:154], v[3:4], off offset:32
	v_mul_u32_u24_e32 v3, 0x199a, v48
	v_lshrrev_b32_e32 v3, 16, v3
	v_mul_lo_u16_e32 v4, 10, v3
	v_sub_u16_e32 v4, v48, v4
	v_mul_lo_u16_e32 v5, 40, v4
	v_add_co_u32_e32 v5, vcc, s10, v5
	v_addc_co_u32_e32 v6, vcc, 0, v85, vcc
	global_load_dwordx4 v[25:28], v[5:6], off
	ds_read2st64_b64 v[133:136], v0 offset0:24 offset1:26
	ds_read2st64_b64 v[137:140], v0 offset0:44 offset1:46
	ds_read2st64_b64 v[141:144], v0 offset0:16 offset1:18
	ds_read2st64_b64 v[145:148], v0 offset0:36 offset1:38
	ds_read2st64_b64 v[149:152], v0 offset0:56 offset1:58
	global_load_dwordx2 v[155:156], v[5:6], off offset:32
	global_load_dwordx4 v[29:32], v[5:6], off offset:16
	v_mul_u32_u24_e32 v5, 0x199a, v84
	v_lshrrev_b32_e32 v90, 16, v5
	v_mul_lo_u16_e32 v5, 10, v90
	v_sub_u16_e32 v91, v84, v5
	v_mul_lo_u16_e32 v5, 40, v91
	v_add_co_u32_e32 v5, vcc, s10, v5
	v_addc_co_u32_e32 v6, vcc, 0, v85, vcc
	global_load_dwordx4 v[37:40], v[5:6], off offset:16
	global_load_dwordx4 v[33:36], v[5:6], off
	s_waitcnt vmcnt(11)
	buffer_store_dword v9, off, s[20:23], 0 offset:416 ; 4-byte Folded Spill
	s_nop 0
	buffer_store_dword v10, off, s[20:23], 0 offset:420 ; 4-byte Folded Spill
	global_load_dwordx2 v[157:158], v[5:6], off offset:32
	s_waitcnt vmcnt(12)
	buffer_store_dword v11, off, s[20:23], 0 offset:508 ; 4-byte Folded Spill
	s_nop 0
	buffer_store_dword v12, off, s[20:23], 0 offset:512 ; 4-byte Folded Spill
	s_waitcnt vmcnt(10)
	buffer_store_dword v153, off, s[20:23], 0 offset:524 ; 4-byte Folded Spill
	s_nop 0
	buffer_store_dword v154, off, s[20:23], 0 offset:528 ; 4-byte Folded Spill
	;; [unrolled: 4-line block ×4, first 2 shown]
	s_waitcnt lgkmcnt(13)
	v_mul_f32_e32 v7, v44, v179
	s_waitcnt lgkmcnt(12)
	v_mul_f32_e32 v8, v96, v181
	v_fma_f32 v50, v43, v178, -v7
	v_mul_f32_e32 v7, v97, v181
	v_fmac_f32_e32 v8, v97, v180
	s_waitcnt lgkmcnt(9)
	v_mul_f32_e32 v97, v116, v10
	v_fma_f32 v5, v115, v9, -v97
	s_waitcnt lgkmcnt(8)
	v_mul_f32_e32 v97, v118, v223
	v_mul_f32_e32 v51, v43, v179
	;; [unrolled: 1-line block ×3, first 2 shown]
	v_fma_f32 v100, v117, v222, -v97
	v_mul_f32_e32 v97, v99, v225
	v_fmac_f32_e32 v51, v44, v178
	v_fma_f32 v43, v107, v101, -v43
	v_mul_f32_e32 v44, v107, v102
	v_mul_f32_e32 v52, v110, v104
	v_fma_f32 v107, v98, v224, -v97
	s_waitcnt lgkmcnt(7)
	v_mul_f32_e32 v97, v122, v14
	v_fma_f32 v7, v96, v180, -v7
	v_fma_f32 v52, v109, v103, -v52
	v_mul_f32_e32 v96, v109, v104
	v_mul_f32_e32 v6, v115, v10
	v_fma_f32 v109, v121, v13, -v97
	v_mul_f32_e32 v97, v112, v16
	v_fmac_f32_e32 v6, v116, v9
	v_fma_f32 v116, v111, v15, -v97
	v_mul_f32_e32 v111, v111, v16
	s_waitcnt lgkmcnt(6)
	v_mul_f32_e32 v97, v126, v12
	v_fmac_f32_e32 v111, v112, v15
	v_fma_f32 v112, v125, v11, -v97
	v_mul_f32_e32 v97, v120, v18
	v_fmac_f32_e32 v96, v110, v103
	v_mul_f32_e32 v110, v117, v223
	v_mul_f32_e32 v115, v121, v14
	v_fma_f32 v121, v119, v17, -v97
	s_waitcnt lgkmcnt(4)
	v_mul_f32_e32 v97, v134, v20
	v_fmac_f32_e32 v110, v118, v222
	v_fmac_f32_e32 v115, v122, v13
	v_mul_f32_e32 v122, v119, v18
	v_fma_f32 v118, v133, v19, -v97
	v_mul_f32_e32 v97, v124, v22
	v_fmac_f32_e32 v122, v120, v17
	v_fma_f32 v120, v123, v21, -v97
	v_mul_f32_e32 v123, v123, v22
	s_waitcnt lgkmcnt(3)
	v_mul_f32_e32 v97, v138, v24
	v_mul_f32_e32 v117, v125, v12
	v_fmac_f32_e32 v123, v124, v21
	v_fma_f32 v124, v137, v23, -v97
	v_mul_f32_e32 v97, v128, v154
	v_fmac_f32_e32 v117, v126, v11
	v_mul_f32_e32 v119, v133, v20
	v_fma_f32 v126, v127, v153, -v97
	s_waitcnt lgkmcnt(2)
	v_mul_f32_e32 v97, v142, v26
	v_fmac_f32_e32 v119, v134, v19
	v_mul_f32_e32 v127, v127, v154
	v_fma_f32 v134, v141, v25, -v97
	v_mul_f32_e32 v97, v136, v28
	v_fmac_f32_e32 v127, v128, v153
	v_fma_f32 v128, v135, v27, -v97
	s_waitcnt lgkmcnt(1)
	v_mul_f32_e32 v97, v146, v30
	v_mul_f32_e32 v125, v137, v24
	;; [unrolled: 1-line block ×3, first 2 shown]
	v_fma_f32 v135, v145, v29, -v97
	v_mul_f32_e32 v97, v140, v32
	v_fmac_f32_e32 v125, v138, v23
	v_fma_f32 v138, v139, v31, -v97
	v_mul_f32_e32 v139, v139, v32
	s_waitcnt lgkmcnt(0)
	v_mul_f32_e32 v97, v150, v156
	v_fmac_f32_e32 v139, v140, v31
	v_fma_f32 v140, v149, v155, -v97
	v_mul_f32_e32 v97, v144, v34
	v_mul_f32_e32 v137, v141, v26
	v_fmac_f32_e32 v133, v136, v27
	v_mul_f32_e32 v136, v145, v30
	v_fma_f32 v145, v143, v33, -v97
	v_mul_f32_e32 v97, v106, v36
	v_fmac_f32_e32 v137, v142, v25
	v_fmac_f32_e32 v136, v146, v29
	v_mul_f32_e32 v146, v143, v34
	v_fma_f32 v142, v105, v35, -v97
	v_mul_f32_e32 v97, v148, v38
	v_fmac_f32_e32 v44, v108, v101
	v_mul_f32_e32 v108, v98, v225
	v_fmac_f32_e32 v146, v144, v33
	v_fma_f32 v144, v147, v37, -v97
	v_mul_f32_e32 v147, v147, v38
	v_mul_f32_e32 v97, v114, v40
	v_add_f32_e32 v98, v7, v52
	v_mul_f32_e32 v141, v149, v156
	v_fmac_f32_e32 v147, v148, v37
	v_fma_f32 v148, v113, v39, -v97
	v_mul_f32_e32 v97, v152, v158
	v_fma_f32 v98, -0.5, v98, v92
	v_fmac_f32_e32 v108, v99, v224
	v_fmac_f32_e32 v141, v150, v155
	v_fma_f32 v150, v151, v157, -v97
	v_add_f32_e32 v97, v92, v7
	v_sub_f32_e32 v92, v8, v96
	v_mov_b32_e32 v99, v98
	v_mul_f32_e32 v143, v105, v36
	v_fmac_f32_e32 v99, 0x3f5db3d7, v92
	v_fmac_f32_e32 v98, 0xbf5db3d7, v92
	v_add_f32_e32 v92, v93, v8
	v_add_f32_e32 v8, v8, v96
	v_fmac_f32_e32 v143, v106, v35
	v_fma_f32 v106, -0.5, v8, v93
	v_add_f32_e32 v97, v97, v52
	v_sub_f32_e32 v7, v7, v52
	v_mov_b32_e32 v52, v106
	v_fmac_f32_e32 v52, 0xbf5db3d7, v7
	v_fmac_f32_e32 v106, 0x3f5db3d7, v7
	v_add_f32_e32 v7, v50, v43
	v_add_f32_e32 v105, v92, v96
	v_add_f32_e32 v92, v7, v5
	v_add_f32_e32 v7, v43, v5
	v_fmac_f32_e32 v50, -0.5, v7
	v_sub_f32_e32 v7, v44, v6
	v_mov_b32_e32 v8, v50
	v_fmac_f32_e32 v8, 0x3f5db3d7, v7
	v_fmac_f32_e32 v50, 0xbf5db3d7, v7
	v_add_f32_e32 v7, v51, v44
	v_add_f32_e32 v93, v7, v6
	;; [unrolled: 1-line block ×3, first 2 shown]
	v_fmac_f32_e32 v51, -0.5, v6
	v_sub_f32_e32 v5, v43, v5
	v_mov_b32_e32 v44, v51
	v_mul_f32_e32 v149, v113, v40
	v_fmac_f32_e32 v44, 0xbf5db3d7, v5
	v_fmac_f32_e32 v51, 0x3f5db3d7, v5
	v_mul_f32_e32 v113, -0.5, v50
	v_mul_f32_e32 v96, 0x3f5db3d7, v44
	v_fmac_f32_e32 v113, 0x3f5db3d7, v51
	v_mul_f32_e32 v51, -0.5, v51
	v_fmac_f32_e32 v149, v114, v39
	v_fmac_f32_e32 v96, 0.5, v8
	v_mul_f32_e32 v114, 0xbf5db3d7, v8
	v_fmac_f32_e32 v51, 0xbf5db3d7, v50
	v_add_f32_e32 v7, v99, v96
	v_fmac_f32_e32 v114, 0.5, v44
	v_add_f32_e32 v44, v106, v51
	v_sub_f32_e32 v96, v99, v96
	v_sub_f32_e32 v99, v106, v51
	v_add_f32_e32 v51, v107, v116
	v_fma_f32 v51, -0.5, v51, v94
	v_add_f32_e32 v5, v97, v92
	v_add_f32_e32 v6, v105, v93
	;; [unrolled: 1-line block ×3, first 2 shown]
	v_sub_f32_e32 v92, v97, v92
	v_sub_f32_e32 v93, v105, v93
	;; [unrolled: 1-line block ×3, first 2 shown]
	v_add_f32_e32 v50, v94, v107
	v_sub_f32_e32 v52, v108, v111
	v_mov_b32_e32 v94, v51
	v_add_f32_e32 v105, v108, v111
	v_fmac_f32_e32 v94, 0x3f5db3d7, v52
	v_fmac_f32_e32 v51, 0xbf5db3d7, v52
	v_add_f32_e32 v52, v95, v108
	v_fmac_f32_e32 v95, -0.5, v105
	v_sub_f32_e32 v105, v107, v116
	v_mov_b32_e32 v114, v95
	v_fmac_f32_e32 v114, 0xbf5db3d7, v105
	v_fmac_f32_e32 v95, 0x3f5db3d7, v105
	v_add_f32_e32 v105, v100, v109
	v_add_f32_e32 v52, v52, v111
	;; [unrolled: 1-line block ×4, first 2 shown]
	v_fmac_f32_e32 v100, -0.5, v105
	v_sub_f32_e32 v105, v115, v117
	v_mov_b32_e32 v108, v100
	v_fmac_f32_e32 v108, 0x3f5db3d7, v105
	v_fmac_f32_e32 v100, 0xbf5db3d7, v105
	v_add_f32_e32 v105, v110, v115
	v_add_f32_e32 v50, v50, v116
	v_add_f32_e32 v116, v105, v117
	v_add_f32_e32 v105, v115, v117
	v_fmac_f32_e32 v110, -0.5, v105
	v_sub_f32_e32 v105, v109, v112
	v_mov_b32_e32 v112, v110
	v_fmac_f32_e32 v112, 0xbf5db3d7, v105
	v_add_f32_e32 v43, v98, v113
	v_sub_f32_e32 v98, v98, v113
	v_fmac_f32_e32 v110, 0x3f5db3d7, v105
	v_mul_f32_e32 v113, 0x3f5db3d7, v112
	v_mul_f32_e32 v115, -0.5, v100
	v_fmac_f32_e32 v113, 0.5, v108
	v_fmac_f32_e32 v115, 0x3f5db3d7, v110
	v_mul_f32_e32 v151, v151, v158
	v_add_f32_e32 v107, v94, v113
	v_add_f32_e32 v109, v51, v115
	v_sub_f32_e32 v113, v94, v113
	v_sub_f32_e32 v94, v51, v115
	v_add_f32_e32 v51, v118, v124
	v_add_f32_e32 v115, v119, v125
	v_fmac_f32_e32 v151, v152, v157
	v_add_f32_e32 v105, v50, v111
	v_mul_f32_e32 v117, 0xbf5db3d7, v108
	v_mul_f32_e32 v152, -0.5, v110
	v_sub_f32_e32 v111, v50, v111
	v_add_f32_e32 v50, v129, v118
	v_fma_f32 v51, -0.5, v51, v129
	v_fma_f32 v129, -0.5, v115, v130
	v_add_f32_e32 v106, v52, v116
	v_fmac_f32_e32 v117, 0.5, v112
	v_fmac_f32_e32 v152, 0xbf5db3d7, v100
	v_sub_f32_e32 v112, v52, v116
	v_add_f32_e32 v50, v50, v124
	v_sub_f32_e32 v52, v119, v125
	v_mov_b32_e32 v100, v51
	v_sub_f32_e32 v115, v118, v124
	v_mov_b32_e32 v124, v129
	v_fmac_f32_e32 v100, 0x3f5db3d7, v52
	v_fmac_f32_e32 v51, 0xbf5db3d7, v52
	v_add_f32_e32 v52, v130, v119
	v_fmac_f32_e32 v124, 0xbf5db3d7, v115
	v_fmac_f32_e32 v129, 0x3f5db3d7, v115
	v_add_f32_e32 v115, v121, v120
	v_add_f32_e32 v52, v52, v125
	;; [unrolled: 1-line block ×4, first 2 shown]
	v_fmac_f32_e32 v121, -0.5, v115
	v_sub_f32_e32 v115, v123, v127
	v_mov_b32_e32 v118, v121
	v_fmac_f32_e32 v118, 0x3f5db3d7, v115
	v_fmac_f32_e32 v121, 0xbf5db3d7, v115
	v_add_f32_e32 v115, v122, v123
	v_add_f32_e32 v130, v115, v127
	;; [unrolled: 1-line block ×3, first 2 shown]
	v_fmac_f32_e32 v122, -0.5, v115
	v_sub_f32_e32 v115, v120, v126
	v_mov_b32_e32 v120, v122
	v_fmac_f32_e32 v122, 0x3f5db3d7, v115
	v_mul_f32_e32 v126, -0.5, v121
	v_add_f32_e32 v110, v95, v152
	v_sub_f32_e32 v95, v95, v152
	v_fmac_f32_e32 v120, 0xbf5db3d7, v115
	v_fmac_f32_e32 v126, 0x3f5db3d7, v122
	v_mul_f32_e32 v152, -0.5, v122
	v_add_f32_e32 v115, v50, v125
	v_mul_f32_e32 v123, 0x3f5db3d7, v120
	v_add_f32_e32 v119, v51, v126
	v_mul_f32_e32 v127, 0xbf5db3d7, v118
	v_fmac_f32_e32 v152, 0xbf5db3d7, v121
	v_sub_f32_e32 v121, v50, v125
	v_sub_f32_e32 v125, v51, v126
	v_add_f32_e32 v51, v128, v138
	v_fmac_f32_e32 v123, 0.5, v118
	v_fmac_f32_e32 v127, 0.5, v120
	v_fma_f32 v51, -0.5, v51, v131
	v_add_f32_e32 v108, v114, v117
	v_sub_f32_e32 v114, v114, v117
	v_add_f32_e32 v117, v100, v123
	v_add_f32_e32 v116, v52, v130
	;; [unrolled: 1-line block ×3, first 2 shown]
	v_sub_f32_e32 v123, v100, v123
	v_sub_f32_e32 v122, v52, v130
	;; [unrolled: 1-line block ×4, first 2 shown]
	v_mov_b32_e32 v100, v51
	v_add_f32_e32 v127, v133, v139
	v_add_f32_e32 v50, v131, v128
	v_fmac_f32_e32 v100, 0x3f5db3d7, v52
	v_fmac_f32_e32 v51, 0xbf5db3d7, v52
	v_add_f32_e32 v52, v132, v133
	v_fmac_f32_e32 v132, -0.5, v127
	v_add_f32_e32 v50, v50, v138
	v_sub_f32_e32 v127, v128, v138
	v_mov_b32_e32 v138, v132
	v_fmac_f32_e32 v138, 0xbf5db3d7, v127
	v_fmac_f32_e32 v132, 0x3f5db3d7, v127
	v_add_f32_e32 v127, v134, v135
	v_add_f32_e32 v131, v127, v140
	;; [unrolled: 1-line block ×3, first 2 shown]
	v_fmac_f32_e32 v134, -0.5, v127
	v_sub_f32_e32 v127, v136, v141
	v_mov_b32_e32 v130, v134
	v_fmac_f32_e32 v130, 0x3f5db3d7, v127
	v_fmac_f32_e32 v134, 0xbf5db3d7, v127
	v_add_f32_e32 v127, v137, v136
	v_add_f32_e32 v52, v52, v139
	;; [unrolled: 1-line block ×4, first 2 shown]
	v_fmac_f32_e32 v137, -0.5, v127
	v_sub_f32_e32 v127, v135, v140
	v_mov_b32_e32 v135, v137
	v_fmac_f32_e32 v137, 0x3f5db3d7, v127
	v_mul_f32_e32 v140, -0.5, v134
	v_fmac_f32_e32 v135, 0xbf5db3d7, v127
	v_fmac_f32_e32 v140, 0x3f5db3d7, v137
	v_mul_f32_e32 v141, 0xbf5db3d7, v130
	v_add_f32_e32 v127, v50, v131
	v_mul_f32_e32 v136, 0x3f5db3d7, v135
	v_add_f32_e32 v133, v51, v140
	v_fmac_f32_e32 v141, 0.5, v135
	v_sub_f32_e32 v135, v50, v131
	v_sub_f32_e32 v131, v51, v140
	v_add_f32_e32 v51, v142, v148
	v_fmac_f32_e32 v136, 0.5, v130
	v_add_f32_e32 v50, v41, v142
	v_fma_f32 v41, -0.5, v51, v41
	v_add_f32_e32 v120, v129, v152
	v_sub_f32_e32 v126, v129, v152
	v_add_f32_e32 v129, v100, v136
	v_add_f32_e32 v128, v52, v139
	v_mul_f32_e32 v152, -0.5, v137
	v_sub_f32_e32 v137, v100, v136
	v_sub_f32_e32 v136, v52, v139
	;; [unrolled: 1-line block ×3, first 2 shown]
	v_mov_b32_e32 v52, v41
	v_add_f32_e32 v100, v143, v149
	v_fmac_f32_e32 v52, 0x3f5db3d7, v51
	v_fmac_f32_e32 v41, 0xbf5db3d7, v51
	v_add_f32_e32 v51, v42, v143
	v_fmac_f32_e32 v42, -0.5, v100
	v_add_f32_e32 v50, v50, v148
	v_sub_f32_e32 v100, v142, v148
	v_mov_b32_e32 v148, v42
	v_add_f32_e32 v139, v144, v150
	v_mul_u32_u24_e32 v49, 60, v49
	v_fmac_f32_e32 v148, 0xbf5db3d7, v100
	v_fmac_f32_e32 v42, 0x3f5db3d7, v100
	v_add_f32_e32 v100, v145, v144
	v_fmac_f32_e32 v145, -0.5, v139
	v_add_lshl_u32 v9, v49, v87, 3
	v_sub_f32_e32 v139, v147, v151
	v_mov_b32_e32 v142, v145
	s_waitcnt vmcnt(0)
	s_barrier
	buffer_store_dword v9, off, s[20:23], 0 offset:456 ; 4-byte Folded Spill
	ds_write2_b64 v9, v[5:6], v[7:8] offset1:10
	ds_write2_b64 v9, v[43:44], v[92:93] offset0:20 offset1:30
	ds_write2_b64 v9, v[96:97], v[98:99] offset0:40 offset1:50
	v_mul_u32_u24_e32 v5, 60, v88
	v_mad_legacy_u16 v1, v1, 60, v2
	v_fmac_f32_e32 v142, 0x3f5db3d7, v139
	v_fmac_f32_e32 v145, 0xbf5db3d7, v139
	v_add_f32_e32 v139, v146, v147
	v_add_lshl_u32 v5, v5, v89, 3
	v_lshlrev_b32_e32 v1, 3, v1
	v_add_f32_e32 v51, v51, v149
	v_add_f32_e32 v149, v139, v151
	;; [unrolled: 1-line block ×3, first 2 shown]
	buffer_store_dword v5, off, s[20:23], 0 offset:344 ; 4-byte Folded Spill
	ds_write2_b64 v5, v[105:106], v[107:108] offset1:10
	ds_write2_b64 v5, v[109:110], v[111:112] offset0:20 offset1:30
	ds_write2_b64 v5, v[113:114], v[94:95] offset0:40 offset1:50
	buffer_store_dword v1, off, s[20:23], 0 offset:252 ; 4-byte Folded Spill
	ds_write2_b64 v1, v[115:116], v[117:118] offset1:10
	ds_write2_b64 v1, v[119:120], v[121:122] offset0:20 offset1:30
	ds_write2_b64 v1, v[123:124], v[125:126] offset0:40 offset1:50
	v_mad_legacy_u16 v1, v3, 60, v4
	v_add_f32_e32 v130, v138, v141
	v_fmac_f32_e32 v152, 0xbf5db3d7, v134
	v_fmac_f32_e32 v146, -0.5, v139
	v_lshlrev_b32_e32 v1, 3, v1
	v_add_f32_e32 v134, v132, v152
	v_sub_f32_e32 v138, v138, v141
	v_sub_f32_e32 v132, v132, v152
	;; [unrolled: 1-line block ×3, first 2 shown]
	v_mov_b32_e32 v144, v146
	buffer_store_dword v1, off, s[20:23], 0 offset:248 ; 4-byte Folded Spill
	ds_write2_b64 v1, v[127:128], v[129:130] offset1:10
	ds_write2_b64 v1, v[133:134], v[135:136] offset0:20 offset1:30
	ds_write2_b64 v1, v[137:138], v[131:132] offset0:40 offset1:50
	v_mad_legacy_u16 v1, v90, 60, v91
	v_fmac_f32_e32 v144, 0xbf5db3d7, v139
	v_lshlrev_b32_e32 v188, 3, v1
	v_mul_lo_u16_e32 v1, 0x89, v46
	v_fmac_f32_e32 v146, 0x3f5db3d7, v139
	v_mul_f32_e32 v147, 0x3f5db3d7, v144
	v_lshrrev_b16_e32 v8, 13, v1
	v_add_f32_e32 v100, v100, v150
	v_fmac_f32_e32 v147, 0.5, v142
	v_mul_f32_e32 v152, -0.5, v146
	v_mul_lo_u16_e32 v2, 60, v8
	v_mul_u32_u24_e32 v3, 0x445, v47
	v_mul_u32_u24_e32 v4, 0x445, v48
	v_add_f32_e32 v139, v50, v100
	v_add_f32_e32 v141, v52, v147
	v_mul_f32_e32 v150, -0.5, v145
	v_mul_f32_e32 v151, 0xbf5db3d7, v142
	v_fmac_f32_e32 v152, 0xbf5db3d7, v145
	v_sub_f32_e32 v145, v50, v100
	v_sub_f32_e32 v147, v52, v147
	v_sub_u16_e32 v2, v46, v2
	v_lshrrev_b32_e32 v50, 16, v3
	v_lshrrev_b32_e32 v52, 16, v4
	v_fmac_f32_e32 v151, 0.5, v144
	v_and_b32_e32 v49, 0xff, v2
	v_mul_lo_u16_e32 v3, 60, v50
	v_mul_lo_u16_e32 v4, 60, v52
	v_fmac_f32_e32 v150, 0x3f5db3d7, v146
	v_add_f32_e32 v140, v51, v149
	v_add_f32_e32 v142, v148, v151
	v_sub_f32_e32 v146, v51, v149
	v_lshlrev_b32_e32 v2, 3, v49
	v_sub_u16_e32 v51, v47, v3
	v_sub_u16_e32 v100, v48, v4
	v_add_f32_e32 v143, v41, v150
	v_add_f32_e32 v144, v42, v152
	v_sub_f32_e32 v41, v41, v150
	v_sub_f32_e32 v148, v148, v151
	;; [unrolled: 1-line block ×3, first 2 shown]
	ds_write2_b64 v188, v[139:140], v[141:142] offset1:10
	ds_write2_b64 v188, v[143:144], v[145:146] offset0:20 offset1:30
	ds_write2_b64 v188, v[147:148], v[41:42] offset0:40 offset1:50
	s_waitcnt vmcnt(0) lgkmcnt(0)
	s_barrier
	v_lshlrev_b32_e32 v3, 3, v51
	v_lshlrev_b32_e32 v4, 3, v100
	global_load_dwordx2 v[11:12], v2, s[10:11] offset:400
	global_load_dwordx2 v[9:10], v3, s[10:11] offset:400
	;; [unrolled: 1-line block ×3, first 2 shown]
	v_mul_u32_u24_e32 v41, 0x445, v84
	v_lshrrev_b32_e32 v153, 16, v41
	v_mul_u32_u24_e32 v42, 0x445, v86
	v_mul_u32_u24_e32 v92, 0x445, v45
	v_mul_lo_u16_e32 v2, 60, v153
	v_lshrrev_b32_e32 v155, 16, v42
	v_mul_u32_u24_e32 v93, 0x445, v83
	v_lshrrev_b32_e32 v159, 16, v92
	v_sub_u16_e32 v154, v84, v2
	v_mul_lo_u16_e32 v3, 60, v155
	v_lshrrev_b32_e32 v157, 16, v93
	v_mul_lo_u16_e32 v5, 60, v159
	v_lshlrev_b32_e32 v2, 3, v154
	v_sub_u16_e32 v156, v86, v3
	v_mul_lo_u16_e32 v4, 60, v157
	v_sub_u16_e32 v160, v45, v5
	v_mul_u32_u24_e32 v43, 0x889, v81
	v_mul_u32_u24_e32 v44, 0x889, v77
	v_lshlrev_b32_e32 v3, 3, v156
	v_sub_u16_e32 v158, v83, v4
	global_load_dwordx2 v[129:130], v2, s[10:11] offset:400
	v_lshlrev_b32_e32 v2, 3, v160
	v_lshrrev_b32_e32 v161, 17, v43
	v_lshrrev_b32_e32 v163, 17, v44
	v_lshlrev_b32_e32 v4, 3, v158
	global_load_dwordx2 v[131:132], v3, s[10:11] offset:400
	global_load_dwordx2 v[98:99], v4, s[10:11] offset:400
	;; [unrolled: 1-line block ×3, first 2 shown]
	v_mul_lo_u16_e32 v2, 60, v161
	v_mul_lo_u16_e32 v3, 60, v163
	v_sub_u16_e32 v162, v81, v2
	v_sub_u16_e32 v164, v77, v3
	v_mul_u32_u24_e32 v87, 0x889, v79
	v_lshlrev_b32_e32 v2, 3, v162
	v_lshlrev_b32_e32 v3, 3, v164
	v_lshrrev_b32_e32 v165, 17, v87
	global_load_dwordx2 v[137:138], v2, s[10:11] offset:400
	global_load_dwordx2 v[139:140], v3, s[10:11] offset:400
	v_mul_lo_u16_e32 v2, 60, v165
	v_sub_u16_e32 v166, v79, v2
	v_mul_u32_u24_e32 v91, 0x889, v82
	v_lshlrev_b32_e32 v2, 3, v166
	v_lshrrev_b32_e32 v167, 17, v91
	global_load_dwordx2 v[141:142], v2, s[10:11] offset:400
	v_mul_lo_u16_e32 v2, 60, v167
	v_sub_u16_e32 v168, v82, v2
	v_lshlrev_b32_e32 v2, 3, v168
	global_load_dwordx2 v[143:144], v2, s[10:11] offset:400
	ds_read2st64_b64 v[94:97], v0 offset0:32 offset1:34
	ds_read2st64_b64 v[105:108], v0 offset0:36 offset1:38
	;; [unrolled: 1-line block ×6, first 2 shown]
	s_waitcnt vmcnt(10)
	buffer_store_dword v11, off, s[20:23], 0 offset:336 ; 4-byte Folded Spill
	s_nop 0
	buffer_store_dword v12, off, s[20:23], 0 offset:340 ; 4-byte Folded Spill
	s_waitcnt vmcnt(11)
	buffer_store_dword v9, off, s[20:23], 0 offset:328 ; 4-byte Folded Spill
	s_nop 0
	buffer_store_dword v10, off, s[20:23], 0 offset:332 ; 4-byte Folded Spill
	;; [unrolled: 4-line block ×3, first 2 shown]
	v_mul_u32_u24_e32 v90, 0x889, v80
	v_lshrrev_b32_e32 v173, 17, v90
	s_movk_i32 s8, 0x78
	s_movk_i32 s9, 0xff88
	s_waitcnt lgkmcnt(5)
	v_mul_f32_e32 v2, v95, v12
	v_fma_f32 v4, v94, v11, -v2
	v_mul_f32_e32 v2, v97, v10
	v_fma_f32 v125, v96, v9, -v2
	s_waitcnt lgkmcnt(4)
	v_mul_f32_e32 v2, v106, v7
	v_mul_f32_e32 v128, v105, v7
	v_fma_f32 v127, v105, v6, -v2
	v_fmac_f32_e32 v128, v106, v6
	s_waitcnt vmcnt(13)
	v_mov_b32_e32 v6, v129
	v_mov_b32_e32 v7, v130
	buffer_store_dword v6, off, s[20:23], 0 offset:312 ; 4-byte Folded Spill
	s_nop 0
	buffer_store_dword v7, off, s[20:23], 0 offset:316 ; 4-byte Folded Spill
	v_mul_f32_e32 v5, v94, v12
	v_fmac_f32_e32 v5, v95, v11
	v_mul_f32_e32 v126, v96, v10
	v_fmac_f32_e32 v126, v97, v9
	v_mul_f32_e32 v2, v108, v7
	v_mul_f32_e32 v130, v107, v7
	v_fma_f32 v129, v107, v6, -v2
	v_fmac_f32_e32 v130, v108, v6
	s_waitcnt vmcnt(14)
	v_mov_b32_e32 v6, v131
	v_mov_b32_e32 v7, v132
	buffer_store_dword v6, off, s[20:23], 0 offset:304 ; 4-byte Folded Spill
	s_nop 0
	buffer_store_dword v7, off, s[20:23], 0 offset:308 ; 4-byte Folded Spill
	s_waitcnt vmcnt(15)
	buffer_store_dword v98, off, s[20:23], 0 offset:296 ; 4-byte Folded Spill
	s_nop 0
	buffer_store_dword v99, off, s[20:23], 0 offset:300 ; 4-byte Folded Spill
	s_waitcnt vmcnt(16)
	buffer_store_dword v88, off, s[20:23], 0 offset:288 ; 4-byte Folded Spill
	s_nop 0
	buffer_store_dword v89, off, s[20:23], 0 offset:292 ; 4-byte Folded Spill
	s_waitcnt lgkmcnt(3)
	v_mul_f32_e32 v2, v110, v7
	v_mul_f32_e32 v132, v109, v7
	v_fma_f32 v131, v109, v6, -v2
	v_fmac_f32_e32 v132, v110, v6
	s_waitcnt vmcnt(17)
	v_mov_b32_e32 v6, v137
	v_mov_b32_e32 v7, v138
	buffer_store_dword v6, off, s[20:23], 0 offset:280 ; 4-byte Folded Spill
	s_nop 0
	buffer_store_dword v7, off, s[20:23], 0 offset:284 ; 4-byte Folded Spill
	v_mul_f32_e32 v2, v112, v99
	v_fma_f32 v133, v111, v98, -v2
	s_waitcnt lgkmcnt(2)
	v_mul_f32_e32 v2, v114, v89
	v_fma_f32 v135, v113, v88, -v2
	v_mul_f32_e32 v136, v113, v89
	v_fmac_f32_e32 v136, v114, v88
	v_mul_u32_u24_e32 v88, 0x889, v76
	v_lshrrev_b32_e32 v169, 17, v88
	v_mul_u32_u24_e32 v89, 0x889, v78
	v_lshrrev_b32_e32 v171, 17, v89
	v_mul_f32_e32 v134, v111, v99
	v_fmac_f32_e32 v134, v112, v98
	v_mul_f32_e32 v2, v116, v7
	v_mul_f32_e32 v138, v115, v7
	v_fma_f32 v137, v115, v6, -v2
	v_fmac_f32_e32 v138, v116, v6
	s_waitcnt vmcnt(18)
	v_mov_b32_e32 v6, v139
	v_mov_b32_e32 v7, v140
	buffer_store_dword v6, off, s[20:23], 0 offset:272 ; 4-byte Folded Spill
	s_nop 0
	buffer_store_dword v7, off, s[20:23], 0 offset:276 ; 4-byte Folded Spill
	s_waitcnt lgkmcnt(1)
	v_mul_f32_e32 v2, v118, v7
	v_mul_f32_e32 v140, v117, v7
	v_fma_f32 v139, v117, v6, -v2
	v_fmac_f32_e32 v140, v118, v6
	s_waitcnt vmcnt(19)
	v_mov_b32_e32 v6, v141
	v_mov_b32_e32 v7, v142
	buffer_store_dword v6, off, s[20:23], 0 offset:256 ; 4-byte Folded Spill
	s_nop 0
	buffer_store_dword v7, off, s[20:23], 0 offset:260 ; 4-byte Folded Spill
	v_mul_f32_e32 v2, v120, v7
	v_mul_f32_e32 v142, v119, v7
	v_fma_f32 v141, v119, v6, -v2
	v_fmac_f32_e32 v142, v120, v6
	s_waitcnt vmcnt(20)
	v_mov_b32_e32 v6, v143
	v_mov_b32_e32 v7, v144
	buffer_store_dword v6, off, s[20:23], 0 offset:264 ; 4-byte Folded Spill
	s_nop 0
	buffer_store_dword v7, off, s[20:23], 0 offset:268 ; 4-byte Folded Spill
	s_waitcnt lgkmcnt(0)
	v_mul_f32_e32 v2, v122, v7
	v_fma_f32 v143, v121, v6, -v2
	v_mul_lo_u16_e32 v2, 60, v169
	v_sub_u16_e32 v170, v76, v2
	v_mul_lo_u16_e32 v2, 60, v171
	v_sub_u16_e32 v172, v78, v2
	;; [unrolled: 2-line block ×3, first 2 shown]
	v_lshlrev_b32_e32 v2, 3, v170
	global_load_dwordx2 v[11:12], v2, s[10:11] offset:400
	s_waitcnt vmcnt(0)
	buffer_store_dword v11, off, s[20:23], 0 offset:348 ; 4-byte Folded Spill
	s_nop 0
	buffer_store_dword v12, off, s[20:23], 0 offset:352 ; 4-byte Folded Spill
	v_lshlrev_b32_e32 v2, 3, v172
	v_mul_f32_e32 v144, v121, v7
	global_load_dwordx2 v[9:10], v2, s[10:11] offset:400
	v_lshlrev_b32_e32 v2, 3, v174
	v_fmac_f32_e32 v144, v122, v6
	global_load_dwordx2 v[6:7], v2, s[10:11] offset:400
	ds_read2st64_b64 v[94:97], v0 offset0:56 offset1:58
	s_waitcnt vmcnt(1)
	buffer_store_dword v9, off, s[20:23], 0 offset:364 ; 4-byte Folded Spill
	s_nop 0
	buffer_store_dword v10, off, s[20:23], 0 offset:368 ; 4-byte Folded Spill
	s_waitcnt vmcnt(2)
	buffer_store_dword v6, off, s[20:23], 0 offset:376 ; 4-byte Folded Spill
	s_nop 0
	buffer_store_dword v7, off, s[20:23], 0 offset:380 ; 4-byte Folded Spill
	v_mul_f32_e32 v2, v124, v12
	v_fma_f32 v147, v123, v11, -v2
	v_mul_f32_e32 v148, v123, v12
	v_fmac_f32_e32 v148, v124, v11
	s_waitcnt lgkmcnt(0)
	v_mul_f32_e32 v2, v95, v10
	v_fma_f32 v149, v94, v9, -v2
	v_mul_f32_e32 v150, v94, v10
	v_mul_f32_e32 v2, v97, v7
	v_fma_f32 v151, v96, v6, -v2
	v_mul_lo_u16_e32 v2, 0x89, v234
	v_lshrrev_b16_e32 v175, 13, v2
	v_mul_lo_u16_e32 v2, 60, v175
	v_sub_u16_e32 v2, v234, v2
	v_and_b32_e32 v176, 0xff, v2
	v_mul_f32_e32 v152, v96, v7
	v_lshlrev_b32_e32 v2, 3, v176
	v_fmac_f32_e32 v152, v97, v6
	global_load_dwordx2 v[6:7], v2, s[10:11] offset:400
	s_waitcnt vmcnt(0)
	buffer_store_dword v6, off, s[20:23], 0 offset:400 ; 4-byte Folded Spill
	s_nop 0
	buffer_store_dword v7, off, s[20:23], 0 offset:404 ; 4-byte Folded Spill
	v_fmac_f32_e32 v150, v95, v9
	ds_read2st64_b64 v[94:97], v0 offset0:28 offset1:30
	v_mul_u32_u24_e32 v175, 0x78, v175
	v_add_lshl_u32 v9, v175, v176, 3
	buffer_store_dword v9, off, s[20:23], 0 offset:448 ; 4-byte Folded Spill
	v_lshrrev_b32_e32 v175, 18, v90
	s_waitcnt lgkmcnt(0)
	v_sub_f32_e32 v151, v94, v151
	v_sub_f32_e32 v152, v95, v152
	v_fma_f32 v94, v94, 2.0, -v151
	v_fma_f32 v95, v95, 2.0, -v152
	v_mul_f32_e32 v2, v97, v7
	v_mul_f32_e32 v3, v96, v7
	v_fma_f32 v2, v96, v6, -v2
	v_fmac_f32_e32 v3, v97, v6
	ds_read2st64_b64 v[96:99], v0 offset1:2
	s_waitcnt lgkmcnt(0)
	v_sub_f32_e32 v2, v96, v2
	v_sub_f32_e32 v3, v97, v3
	v_sub_f32_e32 v4, v98, v4
	v_sub_f32_e32 v5, v99, v5
	v_fma_f32 v6, v96, 2.0, -v2
	v_fma_f32 v7, v97, 2.0, -v3
	v_fma_f32 v105, v98, 2.0, -v4
	v_fma_f32 v106, v99, 2.0, -v5
	ds_read2st64_b64 v[96:99], v0 offset0:4 offset1:6
	s_waitcnt lgkmcnt(0)
	v_sub_f32_e32 v107, v96, v125
	v_sub_f32_e32 v108, v97, v126
	v_sub_f32_e32 v109, v98, v127
	v_sub_f32_e32 v110, v99, v128
	v_fma_f32 v111, v96, 2.0, -v107
	v_fma_f32 v112, v97, 2.0, -v108
	v_fma_f32 v113, v98, 2.0, -v109
	v_fma_f32 v114, v99, 2.0, -v110
	ds_read2st64_b64 v[96:99], v0 offset0:8 offset1:10
	s_waitcnt lgkmcnt(0)
	v_sub_f32_e32 v115, v96, v129
	v_sub_f32_e32 v116, v97, v130
	v_sub_f32_e32 v117, v98, v131
	v_sub_f32_e32 v118, v99, v132
	v_fma_f32 v119, v96, 2.0, -v115
	v_fma_f32 v120, v97, 2.0, -v116
	v_fma_f32 v121, v98, 2.0, -v117
	v_fma_f32 v122, v99, 2.0, -v118
	ds_read2st64_b64 v[96:99], v0 offset0:12 offset1:14
	s_waitcnt lgkmcnt(0)
	v_sub_f32_e32 v123, v96, v133
	v_sub_f32_e32 v124, v97, v134
	v_sub_f32_e32 v125, v98, v135
	v_sub_f32_e32 v126, v99, v136
	v_fma_f32 v127, v96, 2.0, -v123
	v_fma_f32 v128, v97, 2.0, -v124
	v_fma_f32 v129, v98, 2.0, -v125
	v_fma_f32 v130, v99, 2.0, -v126
	ds_read2st64_b64 v[96:99], v0 offset0:16 offset1:18
	s_waitcnt lgkmcnt(0)
	v_sub_f32_e32 v131, v96, v137
	v_sub_f32_e32 v132, v97, v138
	v_sub_f32_e32 v133, v98, v139
	v_sub_f32_e32 v134, v99, v140
	v_fma_f32 v135, v96, 2.0, -v131
	v_fma_f32 v136, v97, 2.0, -v132
	v_fma_f32 v137, v98, 2.0, -v133
	v_fma_f32 v138, v99, 2.0, -v134
	ds_read2st64_b64 v[96:99], v0 offset0:20 offset1:22
	s_waitcnt lgkmcnt(0)
	v_sub_f32_e32 v139, v96, v141
	v_sub_f32_e32 v140, v97, v142
	v_sub_f32_e32 v141, v98, v143
	v_sub_f32_e32 v142, v99, v144
	v_fma_f32 v143, v96, 2.0, -v139
	v_fma_f32 v144, v97, 2.0, -v140
	v_fma_f32 v145, v98, 2.0, -v141
	v_fma_f32 v146, v99, 2.0, -v142
	ds_read2st64_b64 v[96:99], v0 offset0:24 offset1:26
	s_waitcnt vmcnt(0) lgkmcnt(0)
	s_barrier
	ds_write2_b64 v9, v[6:7], v[2:3] offset1:60
	v_mul_u32_u24_e32 v2, 0x78, v8
	v_add_lshl_u32 v2, v2, v49, 3
	buffer_store_dword v2, off, s[20:23], 0 offset:444 ; 4-byte Folded Spill
	ds_write2_b64 v2, v[105:106], v[4:5] offset1:60
	v_mad_legacy_u16 v2, v50, s8, v51
	v_lshlrev_b32_e32 v2, 3, v2
	buffer_store_dword v2, off, s[20:23], 0 offset:440 ; 4-byte Folded Spill
	ds_write2_b64 v2, v[111:112], v[107:108] offset1:60
	v_mad_legacy_u16 v2, v52, s8, v100
	v_lshlrev_b32_e32 v2, 3, v2
	;; [unrolled: 4-line block ×10, first 2 shown]
	v_sub_f32_e32 v147, v96, v147
	v_sub_f32_e32 v148, v97, v148
	buffer_store_dword v2, off, s[20:23], 0 offset:384 ; 4-byte Folded Spill
	ds_write2_b64 v2, v[145:146], v[141:142] offset1:60
	v_mad_legacy_u16 v2, v169, s8, v170
	v_fma_f32 v96, v96, 2.0, -v147
	v_fma_f32 v97, v97, 2.0, -v148
	v_lshlrev_b32_e32 v2, 3, v2
	v_sub_f32_e32 v149, v98, v149
	v_sub_f32_e32 v150, v99, v150
	buffer_store_dword v2, off, s[20:23], 0 offset:372 ; 4-byte Folded Spill
	ds_write2_b64 v2, v[96:97], v[147:148] offset1:60
	v_mad_legacy_u16 v2, v171, s8, v172
	v_fma_f32 v98, v98, 2.0, -v149
	v_fma_f32 v99, v99, 2.0, -v150
	v_lshlrev_b32_e32 v2, 3, v2
	buffer_store_dword v2, off, s[20:23], 0 offset:360 ; 4-byte Folded Spill
	ds_write2_b64 v2, v[98:99], v[149:150] offset1:60
	v_mad_legacy_u16 v2, v173, s8, v174
	v_lshlrev_b32_e32 v2, 3, v2
	buffer_store_dword v2, off, s[20:23], 0 offset:356 ; 4-byte Folded Spill
	ds_write2_b64 v2, v[94:95], v[151:152] offset1:60
	v_lshrrev_b16_e32 v49, 14, v1
	v_mul_u32_u24_e32 v2, 0x223, v47
	v_mul_lo_u16_e32 v1, 0x78, v49
	v_lshrrev_b32_e32 v51, 16, v2
	v_sub_u16_e32 v1, v46, v1
	v_mul_lo_u16_e32 v2, 0x78, v51
	v_and_b32_e32 v50, 0xff, v1
	v_sub_u16_e32 v47, v47, v2
	v_lshlrev_b32_e32 v1, 3, v50
	v_lshlrev_b32_e32 v2, 3, v47
	s_waitcnt vmcnt(0) lgkmcnt(0)
	s_barrier
	global_load_dwordx2 v[3:4], v1, s[10:11] offset:880
	global_load_dwordx2 v[7:8], v2, s[10:11] offset:880
	v_mul_u32_u24_e32 v1, 0x223, v48
	v_lshrrev_b32_e32 v52, 16, v1
	v_mul_lo_u16_e32 v2, 0x78, v52
	v_sub_u16_e32 v100, v48, v2
	v_lshlrev_b32_e32 v2, 3, v100
	global_load_dwordx2 v[9:10], v2, s[10:11] offset:880
	ds_read2st64_b64 v[94:97], v0 offset0:32 offset1:34
	ds_read2st64_b64 v[105:108], v0 offset0:36 offset1:38
	v_lshrrev_b32_e32 v155, 17, v41
	v_lshrrev_b32_e32 v157, 17, v42
	v_lshrrev_b32_e32 v159, 17, v93
	v_lshrrev_b32_e32 v161, 17, v92
	v_lshrrev_b32_e32 v163, 18, v43
	v_lshrrev_b32_e32 v165, 18, v44
	v_lshrrev_b32_e32 v167, 18, v87
	v_lshrrev_b32_e32 v169, 18, v91
	v_lshrrev_b32_e32 v171, 18, v88
	v_lshrrev_b32_e32 v173, 18, v89
	s_waitcnt vmcnt(2) lgkmcnt(1)
	v_mul_f32_e32 v2, v95, v4
	v_fma_f32 v5, v94, v3, -v2
	buffer_store_dword v3, off, s[20:23], 0 offset:476 ; 4-byte Folded Spill
	s_nop 0
	buffer_store_dword v4, off, s[20:23], 0 offset:480 ; 4-byte Folded Spill
	s_waitcnt vmcnt(3)
	buffer_store_dword v7, off, s[20:23], 0 offset:460 ; 4-byte Folded Spill
	s_nop 0
	buffer_store_dword v8, off, s[20:23], 0 offset:464 ; 4-byte Folded Spill
	s_waitcnt vmcnt(4)
	buffer_store_dword v9, off, s[20:23], 0 offset:468 ; 4-byte Folded Spill
	s_nop 0
	buffer_store_dword v10, off, s[20:23], 0 offset:472 ; 4-byte Folded Spill
	v_mul_f32_e32 v6, v94, v4
	v_mul_f32_e32 v2, v97, v8
	v_fma_f32 v109, v96, v7, -v2
	v_mul_f32_e32 v110, v96, v8
	v_fmac_f32_e32 v110, v97, v7
	s_waitcnt lgkmcnt(0)
	v_mul_f32_e32 v2, v106, v10
	v_fma_f32 v111, v105, v9, -v2
	v_mul_lo_u16_e32 v2, 0x78, v155
	v_sub_u16_e32 v156, v84, v2
	v_mul_lo_u16_e32 v2, 0x78, v157
	v_sub_u16_e32 v158, v86, v2
	;; [unrolled: 2-line block ×4, first 2 shown]
	v_lshlrev_b32_e32 v2, 3, v156
	global_load_dwordx2 v[11:12], v2, s[10:11] offset:880
	v_mul_f32_e32 v112, v105, v10
	s_waitcnt vmcnt(0)
	buffer_store_dword v11, off, s[20:23], 0 offset:484 ; 4-byte Folded Spill
	s_nop 0
	buffer_store_dword v12, off, s[20:23], 0 offset:488 ; 4-byte Folded Spill
	v_lshlrev_b32_e32 v2, 3, v158
	v_fmac_f32_e32 v112, v106, v9
	global_load_dwordx2 v[9:10], v2, s[10:11] offset:880
	v_lshlrev_b32_e32 v2, 3, v160
	global_load_dwordx2 v[7:8], v2, s[10:11] offset:880
	v_lshlrev_b32_e32 v2, 3, v162
	v_fmac_f32_e32 v6, v95, v3
	global_load_dwordx2 v[3:4], v2, s[10:11] offset:880
	ds_read2st64_b64 v[94:97], v0 offset0:40 offset1:42
	s_waitcnt vmcnt(2)
	buffer_store_dword v9, off, s[20:23], 0 offset:492 ; 4-byte Folded Spill
	s_nop 0
	buffer_store_dword v10, off, s[20:23], 0 offset:496 ; 4-byte Folded Spill
	s_waitcnt vmcnt(3)
	buffer_store_dword v7, off, s[20:23], 0 offset:500 ; 4-byte Folded Spill
	s_nop 0
	buffer_store_dword v8, off, s[20:23], 0 offset:504 ; 4-byte Folded Spill
	v_mul_f32_e32 v2, v108, v12
	v_fma_f32 v117, v107, v11, -v2
	v_mul_f32_e32 v118, v107, v12
	v_fmac_f32_e32 v118, v108, v11
	s_waitcnt lgkmcnt(0)
	v_mul_f32_e32 v2, v95, v10
	v_fma_f32 v119, v94, v9, -v2
	v_mul_f32_e32 v120, v94, v10
	v_mul_f32_e32 v2, v97, v8
	;; [unrolled: 1-line block ×3, first 2 shown]
	v_fmac_f32_e32 v120, v95, v9
	v_fma_f32 v125, v96, v7, -v2
	v_fmac_f32_e32 v126, v97, v7
	ds_read2st64_b64 v[94:97], v0 offset0:44 offset1:46
	s_waitcnt vmcnt(4)
	buffer_store_dword v3, off, s[20:23], 0 offset:516 ; 4-byte Folded Spill
	s_nop 0
	buffer_store_dword v4, off, s[20:23], 0 offset:520 ; 4-byte Folded Spill
	s_waitcnt lgkmcnt(0)
	v_mul_f32_e32 v2, v95, v4
	v_fma_f32 v127, v94, v3, -v2
	v_mul_lo_u16_e32 v2, 0x78, v163
	v_sub_u16_e32 v164, v81, v2
	v_mul_lo_u16_e32 v2, 0x78, v165
	v_sub_u16_e32 v166, v77, v2
	;; [unrolled: 2-line block ×4, first 2 shown]
	v_lshlrev_b32_e32 v2, 3, v164
	global_load_dwordx2 v[11:12], v2, s[10:11] offset:880
	s_waitcnt vmcnt(0)
	buffer_store_dword v11, off, s[20:23], 0 offset:548 ; 4-byte Folded Spill
	s_nop 0
	buffer_store_dword v12, off, s[20:23], 0 offset:552 ; 4-byte Folded Spill
	v_lshlrev_b32_e32 v2, 3, v166
	v_mul_f32_e32 v128, v94, v4
	global_load_dwordx2 v[9:10], v2, s[10:11] offset:880
	v_lshlrev_b32_e32 v2, 3, v168
	v_fmac_f32_e32 v128, v95, v3
	global_load_dwordx2 v[3:4], v2, s[10:11] offset:880
	v_lshlrev_b32_e32 v2, 3, v170
	global_load_dwordx2 v[7:8], v2, s[10:11] offset:880
	v_mul_f32_e32 v2, v97, v12
	v_mul_f32_e32 v134, v96, v12
	v_fma_f32 v133, v96, v11, -v2
	v_fmac_f32_e32 v134, v97, v11
	ds_read2st64_b64 v[94:97], v0 offset0:48 offset1:50
	s_waitcnt vmcnt(2) lgkmcnt(0)
	v_mul_f32_e32 v2, v95, v10
	v_fma_f32 v135, v94, v9, -v2
	buffer_store_dword v9, off, s[20:23], 0 offset:572 ; 4-byte Folded Spill
	s_nop 0
	buffer_store_dword v10, off, s[20:23], 0 offset:576 ; 4-byte Folded Spill
	s_waitcnt vmcnt(3)
	buffer_store_dword v3, off, s[20:23], 0 offset:580 ; 4-byte Folded Spill
	s_nop 0
	buffer_store_dword v4, off, s[20:23], 0 offset:584 ; 4-byte Folded Spill
	v_mul_f32_e32 v136, v94, v10
	v_mul_f32_e32 v2, v97, v4
	;; [unrolled: 1-line block ×3, first 2 shown]
	v_fmac_f32_e32 v136, v95, v9
	v_fma_f32 v141, v96, v3, -v2
	v_fmac_f32_e32 v142, v97, v3
	ds_read2st64_b64 v[94:97], v0 offset0:52 offset1:54
	s_waitcnt vmcnt(4)
	buffer_store_dword v7, off, s[20:23], 0 offset:596 ; 4-byte Folded Spill
	s_nop 0
	buffer_store_dword v8, off, s[20:23], 0 offset:600 ; 4-byte Folded Spill
	s_waitcnt lgkmcnt(0)
	v_mul_f32_e32 v2, v95, v8
	v_fma_f32 v143, v94, v7, -v2
	v_mul_lo_u16_e32 v2, 0x78, v171
	v_sub_u16_e32 v172, v76, v2
	v_mul_lo_u16_e32 v2, 0x78, v173
	v_sub_u16_e32 v174, v78, v2
	;; [unrolled: 2-line block ×3, first 2 shown]
	v_lshlrev_b32_e32 v2, 3, v172
	global_load_dwordx2 v[9:10], v2, s[10:11] offset:880
	s_waitcnt vmcnt(0)
	buffer_store_dword v9, off, s[20:23], 0 offset:612 ; 4-byte Folded Spill
	s_nop 0
	buffer_store_dword v10, off, s[20:23], 0 offset:616 ; 4-byte Folded Spill
	v_mul_f32_e32 v144, v94, v8
	v_lshlrev_b32_e32 v2, 3, v174
	v_fmac_f32_e32 v144, v95, v7
	global_load_dwordx2 v[7:8], v2, s[10:11] offset:880
	v_lshlrev_b32_e32 v2, 3, v176
	global_load_dwordx2 v[3:4], v2, s[10:11] offset:880
	v_mul_f32_e32 v2, v97, v10
	v_mul_f32_e32 v150, v96, v10
	v_fma_f32 v149, v96, v9, -v2
	v_fmac_f32_e32 v150, v97, v9
	ds_read2st64_b64 v[94:97], v0 offset0:56 offset1:58
	s_waitcnt vmcnt(1) lgkmcnt(0)
	v_mul_f32_e32 v2, v95, v8
	v_fma_f32 v151, v94, v7, -v2
	buffer_store_dword v7, off, s[20:23], 0 offset:620 ; 4-byte Folded Spill
	s_nop 0
	buffer_store_dword v8, off, s[20:23], 0 offset:624 ; 4-byte Folded Spill
	s_waitcnt vmcnt(2)
	buffer_store_dword v3, off, s[20:23], 0 offset:628 ; 4-byte Folded Spill
	s_nop 0
	buffer_store_dword v4, off, s[20:23], 0 offset:632 ; 4-byte Folded Spill
	v_mul_f32_e32 v152, v94, v8
	v_mul_f32_e32 v2, v97, v4
	v_fma_f32 v153, v96, v3, -v2
	v_mul_f32_e32 v154, v96, v4
	v_add_co_u32_e32 v2, vcc, s9, v234
	v_fmac_f32_e32 v154, v97, v3
	v_addc_co_u32_e64 v3, s[12:13], 0, -1, vcc
	v_cmp_gt_u32_e32 vcc, s8, v234
	v_cndmask_b32_e64 v3, v3, 0, vcc
	v_cndmask_b32_e32 v2, v2, v234, vcc
	v_lshlrev_b64 v[3:4], 3, v[2:3]
	v_fmac_f32_e32 v152, v95, v7
	v_add_co_u32_e32 v3, vcc, s10, v3
	v_addc_co_u32_e32 v4, vcc, v85, v4, vcc
	global_load_dwordx2 v[236:237], v[3:4], off offset:880
	ds_read2st64_b64 v[94:97], v0 offset0:28 offset1:30
	s_movk_i32 s8, 0x77
	v_cmp_lt_u32_e32 vcc, s8, v234
	v_cndmask_b32_e32 v177, 0, v177, vcc
	v_add_lshl_u32 v2, v2, v177, 3
	buffer_store_dword v2, off, s[20:23], 0 offset:672 ; 4-byte Folded Spill
	s_movk_i32 s8, 0xf0
	s_waitcnt lgkmcnt(0)
	v_sub_f32_e32 v153, v94, v153
	v_sub_f32_e32 v154, v95, v154
	v_fma_f32 v94, v94, 2.0, -v153
	v_fma_f32 v95, v95, 2.0, -v154
	s_movk_i32 s12, 0xff90
	v_add_u32_e32 v177, 0x100, v0
	s_waitcnt vmcnt(1)
	v_mul_f32_e32 v3, v97, v237
	v_mul_f32_e32 v4, v96, v237
	v_fma_f32 v3, v96, v236, -v3
	v_fmac_f32_e32 v4, v97, v236
	ds_read2st64_b64 v[96:99], v0 offset1:2
	s_waitcnt lgkmcnt(0)
	v_sub_f32_e32 v3, v96, v3
	v_sub_f32_e32 v4, v97, v4
	v_sub_f32_e32 v5, v98, v5
	v_sub_f32_e32 v6, v99, v6
	v_fma_f32 v105, v96, 2.0, -v3
	v_fma_f32 v106, v97, 2.0, -v4
	v_fma_f32 v107, v98, 2.0, -v5
	v_fma_f32 v108, v99, 2.0, -v6
	ds_read2st64_b64 v[96:99], v0 offset0:4 offset1:6
	s_waitcnt lgkmcnt(0)
	v_sub_f32_e32 v109, v96, v109
	v_sub_f32_e32 v110, v97, v110
	v_sub_f32_e32 v111, v98, v111
	v_sub_f32_e32 v112, v99, v112
	v_fma_f32 v113, v96, 2.0, -v109
	v_fma_f32 v114, v97, 2.0, -v110
	v_fma_f32 v115, v98, 2.0, -v111
	v_fma_f32 v116, v99, 2.0, -v112
	ds_read2st64_b64 v[96:99], v0 offset0:8 offset1:10
	;; [unrolled: 10-line block ×6, first 2 shown]
	s_waitcnt vmcnt(0) lgkmcnt(0)
	s_barrier
	ds_write2_b64 v2, v[105:106], v[3:4] offset1:120
	v_mul_u32_u24_e32 v2, 0xf0, v49
	v_add_lshl_u32 v2, v2, v50, 3
	buffer_store_dword v2, off, s[20:23], 0 offset:668 ; 4-byte Folded Spill
	ds_write2_b64 v2, v[107:108], v[5:6] offset1:120
	v_mad_legacy_u16 v2, v51, s8, v47
	v_lshlrev_b32_e32 v2, 3, v2
	buffer_store_dword v2, off, s[20:23], 0 offset:664 ; 4-byte Folded Spill
	ds_write2_b64 v2, v[113:114], v[109:110] offset1:120
	v_mad_legacy_u16 v2, v52, s8, v100
	v_lshlrev_b32_e32 v2, 3, v2
	;; [unrolled: 4-line block ×10, first 2 shown]
	v_sub_f32_e32 v149, v96, v149
	v_sub_f32_e32 v150, v97, v150
	buffer_store_dword v2, off, s[20:23], 0 offset:560 ; 4-byte Folded Spill
	ds_write2_b64 v2, v[147:148], v[143:144] offset1:120
	v_mad_legacy_u16 v2, v171, s8, v172
	v_fma_f32 v96, v96, 2.0, -v149
	v_fma_f32 v97, v97, 2.0, -v150
	v_lshlrev_b32_e32 v2, 3, v2
	v_sub_f32_e32 v151, v98, v151
	v_sub_f32_e32 v152, v99, v152
	buffer_store_dword v2, off, s[20:23], 0 offset:564 ; 4-byte Folded Spill
	ds_write2_b64 v2, v[96:97], v[149:150] offset1:120
	v_mad_legacy_u16 v2, v173, s8, v174
	v_fma_f32 v98, v98, 2.0, -v151
	v_fma_f32 v99, v99, 2.0, -v152
	v_lshlrev_b32_e32 v2, 3, v2
	buffer_store_dword v2, off, s[20:23], 0 offset:588 ; 4-byte Folded Spill
	ds_write2_b64 v2, v[98:99], v[151:152] offset1:120
	v_mad_legacy_u16 v2, v175, s8, v176
	v_lshlrev_b32_e32 v2, 3, v2
	v_mov_b32_e32 v49, 0
	buffer_store_dword v2, off, s[20:23], 0 offset:592 ; 4-byte Folded Spill
	ds_write2_b64 v2, v[94:95], v[153:154] offset1:120
	v_mov_b32_e32 v47, v49
	s_mov_b64 s[8:9], 0xf0
	v_add_co_u32_e32 v2, vcc, s12, v234
	v_addc_co_u32_e64 v3, s[12:13], 0, -1, vcc
	v_cmp_gt_u64_e32 vcc, s[8:9], v[46:47]
	s_waitcnt lgkmcnt(0)
	v_cndmask_b32_e32 v5, v2, v46, vcc
	v_cndmask_b32_e64 v6, v3, 0, vcc
	v_lshlrev_b64 v[2:3], 3, v[5:6]
	s_waitcnt vmcnt(0)
	s_barrier
	v_add_co_u32_e32 v2, vcc, s10, v2
	v_addc_co_u32_e32 v3, vcc, v85, v3, vcc
	global_load_dwordx2 v[9:10], v[2:3], off offset:1840
	v_lshrrev_b32_e32 v6, 17, v1
	v_mul_lo_u16_e32 v1, 0xf0, v6
	v_sub_u16_e32 v50, v48, v1
	s_waitcnt vmcnt(0)
	buffer_store_dword v9, off, s[20:23], 0 offset:636 ; 4-byte Folded Spill
	s_nop 0
	buffer_store_dword v10, off, s[20:23], 0 offset:640 ; 4-byte Folded Spill
	v_lshlrev_b32_e32 v1, 3, v50
	global_load_dwordx2 v[7:8], v1, s[10:11] offset:1840
	global_load_dwordx2 v[11:12], v0, s[10:11] offset:1968
	ds_read2st64_b64 v[1:4], v0 offset0:32 offset1:34
	s_waitcnt vmcnt(0)
	buffer_store_dword v11, off, s[20:23], 0 offset:644 ; 4-byte Folded Spill
	s_nop 0
	buffer_store_dword v12, off, s[20:23], 0 offset:648 ; 4-byte Folded Spill
	s_waitcnt lgkmcnt(0)
	v_mul_f32_e32 v51, v2, v10
	v_fma_f32 v51, v1, v9, -v51
	v_mul_f32_e32 v52, v1, v10
	v_lshrrev_b32_e32 v149, 18, v42
	v_fmac_f32_e32 v52, v2, v9
	v_lshrrev_b32_e32 v152, 18, v92
	v_lshrrev_b32_e32 v155, 19, v44
	;; [unrolled: 1-line block ×4, first 2 shown]
	s_mov_b64 s[8:9], 0xef
	v_cmp_lt_u64_e32 vcc, s[8:9], v[46:47]
	s_movk_i32 s8, 0x1e0
	s_movk_i32 s9, 0xffa0
	s_mov_b64 s[12:13], 0x1e0
	v_mul_f32_e32 v1, v4, v12
	v_fma_f32 v99, v3, v11, -v1
	v_lshrrev_b32_e32 v1, 18, v41
	v_mul_lo_u16_e32 v1, 0xf0, v1
	v_sub_u16_e32 v41, v84, v1
	v_mul_lo_u16_e32 v1, 0xf0, v149
	v_sub_u16_e32 v86, v86, v1
	v_lshrrev_b32_e32 v1, 18, v93
	v_mul_f32_e32 v100, v3, v12
	v_mul_lo_u16_e32 v1, 0xf0, v1
	v_fmac_f32_e32 v100, v4, v11
	v_sub_u16_e32 v42, v83, v1
	ds_read2st64_b64 v[1:4], v0 offset0:36 offset1:38
	buffer_store_dword v7, off, s[20:23], 0 offset:676 ; 4-byte Folded Spill
	s_nop 0
	buffer_store_dword v8, off, s[20:23], 0 offset:680 ; 4-byte Folded Spill
	v_lshlrev_b32_e32 v150, 3, v41
	v_lshlrev_b32_e32 v151, 3, v42
	s_waitcnt lgkmcnt(0)
	v_mul_f32_e32 v83, v2, v8
	v_fma_f32 v105, v1, v7, -v83
	v_mul_f32_e32 v106, v1, v8
	v_mul_lo_u16_e32 v1, 0xf0, v152
	v_sub_u16_e32 v153, v45, v1
	v_fmac_f32_e32 v106, v2, v7
	v_lshlrev_b32_e32 v2, 3, v153
	v_lshlrev_b32_e32 v1, 3, v86
	global_load_dwordx2 v[238:239], v2, s[10:11] offset:1840
	global_load_dwordx2 v[240:241], v1, s[10:11] offset:1840
	;; [unrolled: 1-line block ×4, first 2 shown]
	s_waitcnt vmcnt(1)
	v_mul_f32_e32 v1, v4, v245
	v_mul_f32_e32 v112, v3, v245
	v_fma_f32 v111, v3, v244, -v1
	v_fmac_f32_e32 v112, v4, v244
	ds_read2st64_b64 v[1:4], v0 offset0:40 offset1:42
	s_waitcnt lgkmcnt(0)
	v_mul_f32_e32 v41, v2, v241
	v_fma_f32 v113, v1, v240, -v41
	v_mul_f32_e32 v114, v1, v241
	s_waitcnt vmcnt(0)
	v_mul_f32_e32 v1, v4, v243
	v_mul_f32_e32 v120, v3, v243
	v_fmac_f32_e32 v114, v2, v240
	v_fma_f32 v119, v3, v242, -v1
	v_fmac_f32_e32 v120, v4, v242
	ds_read2st64_b64 v[1:4], v0 offset0:44 offset1:46
	s_waitcnt lgkmcnt(0)
	v_mul_f32_e32 v41, v2, v239
	v_fma_f32 v121, v1, v238, -v41
	v_mul_f32_e32 v122, v1, v239
	v_lshrrev_b32_e32 v1, 19, v43
	v_mul_lo_u16_e32 v1, 0xf0, v1
	v_sub_u16_e32 v1, v81, v1
	v_lshlrev_b32_e32 v154, 3, v1
	v_mul_lo_u16_e32 v1, 0xf0, v155
	v_sub_u16_e32 v156, v77, v1
	v_lshrrev_b32_e32 v1, 19, v87
	v_mul_lo_u16_e32 v1, 0xf0, v1
	v_sub_u16_e32 v1, v79, v1
	v_lshlrev_b32_e32 v157, 3, v1
	v_mul_lo_u16_e32 v1, 0xf0, v158
	v_sub_u16_e32 v159, v82, v1
	v_fmac_f32_e32 v122, v2, v238
	v_lshlrev_b32_e32 v2, 3, v159
	v_lshlrev_b32_e32 v1, 3, v156
	global_load_dwordx2 v[246:247], v2, s[10:11] offset:1840
	global_load_dwordx2 v[248:249], v1, s[10:11] offset:1840
	;; [unrolled: 1-line block ×4, first 2 shown]
	s_waitcnt vmcnt(1)
	v_mul_f32_e32 v1, v4, v253
	v_mul_f32_e32 v128, v3, v253
	v_fma_f32 v127, v3, v252, -v1
	v_fmac_f32_e32 v128, v4, v252
	ds_read2st64_b64 v[1:4], v0 offset0:48 offset1:50
	s_waitcnt lgkmcnt(0)
	v_mul_f32_e32 v41, v2, v249
	v_fma_f32 v129, v1, v248, -v41
	v_mul_f32_e32 v130, v1, v249
	s_waitcnt vmcnt(0)
	v_mul_f32_e32 v1, v4, v251
	v_mul_f32_e32 v136, v3, v251
	v_fmac_f32_e32 v130, v2, v248
	v_fma_f32 v135, v3, v250, -v1
	v_fmac_f32_e32 v136, v4, v250
	ds_read2st64_b64 v[1:4], v0 offset0:52 offset1:54
	s_waitcnt lgkmcnt(0)
	v_mul_f32_e32 v41, v2, v247
	v_fma_f32 v137, v1, v246, -v41
	v_mul_f32_e32 v138, v1, v247
	v_lshrrev_b32_e32 v1, 19, v88
	v_mul_lo_u16_e32 v1, 0xf0, v1
	v_sub_u16_e32 v1, v76, v1
	v_lshlrev_b32_e32 v160, 3, v1
	v_mul_lo_u16_e32 v1, 0xf0, v161
	v_sub_u16_e32 v162, v78, v1
	v_lshrrev_b32_e32 v1, 19, v90
	v_mul_lo_u16_e32 v1, 0xf0, v1
	v_sub_u16_e32 v1, v80, v1
	v_lshlrev_b32_e32 v163, 3, v1
	v_lshlrev_b32_e32 v1, 3, v162
	global_load_dwordx2 v[254:255], v1, s[10:11] offset:1840
	global_load_dwordx2 v[226:227], v160, s[10:11] offset:1840
	global_load_dwordx2 v[228:229], v163, s[10:11] offset:1840
	global_load_dwordx2 v[220:221], v0, s[10:11] offset:1840
	v_fmac_f32_e32 v138, v2, v246
	ds_read2st64_b64 v[93:96], v0 offset1:2
	s_waitcnt vmcnt(2)
	v_mul_f32_e32 v1, v4, v227
	v_mul_f32_e32 v144, v3, v227
	v_fma_f32 v143, v3, v226, -v1
	v_fmac_f32_e32 v144, v4, v226
	ds_read2st64_b64 v[1:4], v0 offset0:56 offset1:58
	s_waitcnt lgkmcnt(0)
	v_mul_f32_e32 v41, v2, v255
	v_fma_f32 v145, v1, v254, -v41
	v_mul_f32_e32 v146, v1, v255
	s_waitcnt vmcnt(1)
	v_mul_f32_e32 v1, v4, v229
	v_mul_f32_e32 v148, v3, v229
	v_fmac_f32_e32 v146, v2, v254
	v_fma_f32 v147, v3, v228, -v1
	v_fmac_f32_e32 v148, v4, v228
	ds_read2st64_b64 v[1:4], v0 offset0:28 offset1:30
	s_waitcnt vmcnt(0) lgkmcnt(0)
	v_mul_f32_e32 v41, v4, v221
	v_mul_f32_e32 v42, v3, v221
	v_fma_f32 v41, v3, v220, -v41
	v_fmac_f32_e32 v42, v4, v220
	v_sub_f32_e32 v3, v93, v41
	v_sub_f32_e32 v4, v94, v42
	;; [unrolled: 1-line block ×4, first 2 shown]
	v_fma_f32 v83, v93, 2.0, -v3
	v_fma_f32 v84, v94, 2.0, -v4
	;; [unrolled: 1-line block ×4, first 2 shown]
	ds_read2st64_b64 v[93:96], v0 offset0:4 offset1:6
	v_sub_f32_e32 v147, v1, v147
	v_sub_f32_e32 v148, v2, v148
	v_fma_f32 v1, v1, 2.0, -v147
	v_fma_f32 v2, v2, 2.0, -v148
	s_waitcnt lgkmcnt(0)
	v_sub_f32_e32 v99, v93, v99
	v_sub_f32_e32 v100, v94, v100
	;; [unrolled: 1-line block ×4, first 2 shown]
	v_fma_f32 v107, v93, 2.0, -v99
	v_fma_f32 v108, v94, 2.0, -v100
	;; [unrolled: 1-line block ×4, first 2 shown]
	ds_read2st64_b64 v[93:96], v0 offset0:8 offset1:10
	v_lshrrev_b32_e32 v51, 19, v92
	s_waitcnt lgkmcnt(0)
	v_sub_f32_e32 v111, v93, v111
	v_sub_f32_e32 v112, v94, v112
	v_sub_f32_e32 v113, v95, v113
	v_sub_f32_e32 v114, v96, v114
	v_fma_f32 v115, v93, 2.0, -v111
	v_fma_f32 v116, v94, 2.0, -v112
	v_fma_f32 v117, v95, 2.0, -v113
	v_fma_f32 v118, v96, 2.0, -v114
	ds_read2st64_b64 v[93:96], v0 offset0:12 offset1:14
	s_waitcnt lgkmcnt(0)
	v_sub_f32_e32 v119, v93, v119
	v_sub_f32_e32 v120, v94, v120
	v_sub_f32_e32 v121, v95, v121
	v_sub_f32_e32 v122, v96, v122
	v_fma_f32 v123, v93, 2.0, -v119
	v_fma_f32 v124, v94, 2.0, -v120
	v_fma_f32 v125, v95, 2.0, -v121
	v_fma_f32 v126, v96, 2.0, -v122
	ds_read2st64_b64 v[93:96], v0 offset0:16 offset1:18
	;; [unrolled: 10-line block ×4, first 2 shown]
	s_waitcnt lgkmcnt(0)
	s_barrier
	ds_write2_b64 v0, v[83:84], v[3:4] offset1:240
	v_mov_b32_e32 v3, 0x1e0
	v_cndmask_b32_e32 v3, 0, v3, vcc
	v_add_lshl_u32 v3, v3, v5, 3
	buffer_store_dword v3, off, s[20:23], 0 offset:684 ; 4-byte Folded Spill
	ds_write2_b64 v3, v[97:98], v[41:42] offset1:240
	v_add_u32_e32 v3, 0xf80, v0
	ds_write2_b64 v3, v[107:108], v[99:100] offset1:240
	v_mad_legacy_u16 v3, v6, s8, v50
	v_lshlrev_b32_e32 v3, 3, v3
	buffer_store_dword v3, off, s[20:23], 0 offset:688 ; 4-byte Folded Spill
	ds_write2_b64 v3, v[109:110], v[105:106] offset1:240
	v_add_u32_e32 v3, 0x1e00, v150
	buffer_store_dword v3, off, s[20:23], 0 offset:692 ; 4-byte Folded Spill
	ds_write2_b64 v3, v[115:116], v[111:112] offset1:240
	v_mad_legacy_u16 v3, v149, s8, v86
	v_lshlrev_b32_e32 v3, 3, v3
	buffer_store_dword v3, off, s[20:23], 0 offset:700 ; 4-byte Folded Spill
	ds_write2_b64 v3, v[117:118], v[113:114] offset1:240
	v_add_u32_e32 v3, 0x2d00, v151
	buffer_store_dword v3, off, s[20:23], 0 offset:704 ; 4-byte Folded Spill
	;; [unrolled: 7-line block ×4, first 2 shown]
	ds_write2_b64 v3, v[139:140], v[135:136] offset1:240
	v_mad_legacy_u16 v3, v158, s8, v159
	v_sub_f32_e32 v143, v93, v143
	v_sub_f32_e32 v144, v94, v144
	v_lshlrev_b32_e32 v3, 3, v3
	v_fma_f32 v93, v93, 2.0, -v143
	v_fma_f32 v94, v94, 2.0, -v144
	buffer_store_dword v3, off, s[20:23], 0 offset:728 ; 4-byte Folded Spill
	ds_write2_b64 v3, v[141:142], v[137:138] offset1:240
	v_add_u32_e32 v3, 0x5a00, v160
	v_add_co_u32_e32 v47, vcc, s10, v0
	v_sub_f32_e32 v145, v95, v145
	v_sub_f32_e32 v146, v96, v146
	buffer_store_dword v3, off, s[20:23], 0 offset:732 ; 4-byte Folded Spill
	ds_write2_b64 v3, v[93:94], v[143:144] offset1:240
	v_mad_legacy_u16 v3, v161, s8, v162
	s_movk_i32 s8, 0x1000
	v_addc_co_u32_e32 v83, vcc, 0, v85, vcc
	v_fma_f32 v95, v95, 2.0, -v145
	v_fma_f32 v96, v96, 2.0, -v146
	v_lshlrev_b32_e32 v3, 3, v3
	v_add_co_u32_e32 v41, vcc, s8, v47
	buffer_store_dword v3, off, s[20:23], 0 offset:736 ; 4-byte Folded Spill
	ds_write2_b64 v3, v[95:96], v[145:146] offset1:240
	v_add_u32_e32 v3, 0x6900, v163
	v_addc_co_u32_e32 v42, vcc, 0, v83, vcc
	buffer_store_dword v3, off, s[20:23], 0 offset:740 ; 4-byte Folded Spill
	ds_write2_b64 v3, v[1:2], v[147:148] offset1:240
	s_waitcnt vmcnt(0) lgkmcnt(0)
	s_barrier
	global_load_dwordx2 v[204:205], v[41:42], off offset:688
	global_load_dwordx2 v[218:219], v[41:42], off offset:944
	global_load_dwordx2 v[214:215], v0, s[10:11] offset:4016
	ds_read2st64_b64 v[1:4], v0 offset0:32 offset1:34
	v_lshrrev_b32_e32 v139, 20, v91
	s_waitcnt vmcnt(2) lgkmcnt(0)
	v_mul_f32_e32 v5, v2, v205
	v_fma_f32 v46, v1, v204, -v5
	v_mul_f32_e32 v50, v1, v205
	v_mul_lo_u16_e32 v1, 0x1e0, v51
	v_sub_u16_e32 v52, v45, v1
	v_lshlrev_b32_e32 v1, 3, v52
	global_load_dwordx2 v[202:203], v1, s[10:11] offset:3760
	global_load_dwordx2 v[198:199], v[41:42], off offset:1712
	global_load_dwordx2 v[200:201], v[41:42], off offset:1968
	v_fmac_f32_e32 v50, v2, v204
	s_waitcnt vmcnt(1)
	v_mul_f32_e32 v1, v4, v199
	v_fma_f32 v84, v3, v198, -v1
	v_add_co_u32_e32 v1, vcc, s9, v234
	v_addc_co_u32_e64 v2, s[14:15], 0, -1, vcc
	v_cmp_gt_u64_e32 vcc, s[12:13], v[48:49]
	v_mul_f32_e32 v92, v3, v199
	v_cndmask_b32_e32 v5, v1, v48, vcc
	v_cndmask_b32_e64 v6, v2, 0, vcc
	v_lshlrev_b64 v[1:2], 3, v[5:6]
	v_fmac_f32_e32 v92, v4, v198
	v_add_co_u32_e32 v1, vcc, s10, v1
	v_addc_co_u32_e32 v2, vcc, v85, v2, vcc
	global_load_dwordx2 v[186:187], v[1:2], off offset:3760
	ds_read2st64_b64 v[1:4], v0 offset0:36 offset1:38
	s_mov_b64 s[12:13], 0x1df
	v_cmp_lt_u64_e32 vcc, s[12:13], v[48:49]
	s_movk_i32 s9, 0x3c0
	s_mov_b64 s[12:13], 0x3c0
	s_waitcnt lgkmcnt(0)
	v_mul_f32_e32 v97, v3, v215
	v_fmac_f32_e32 v97, v4, v214
	s_waitcnt vmcnt(0)
	v_mul_f32_e32 v6, v2, v187
	v_fma_f32 v6, v1, v186, -v6
	v_mul_f32_e32 v93, v1, v187
	v_mul_f32_e32 v1, v4, v215
	v_fmac_f32_e32 v93, v2, v186
	v_fma_f32 v96, v3, v214, -v1
	ds_read2st64_b64 v[1:4], v0 offset0:40 offset1:42
	s_waitcnt lgkmcnt(0)
	v_mul_f32_e32 v86, v2, v219
	v_fma_f32 v98, v1, v218, -v86
	v_mul_f32_e32 v99, v1, v219
	v_mul_f32_e32 v1, v4, v201
	v_fma_f32 v100, v3, v200, -v1
	v_lshrrev_b32_e32 v1, 20, v43
	v_mul_lo_u16_e32 v1, 0x1e0, v1
	v_sub_u16_e32 v43, v81, v1
	v_lshrrev_b32_e32 v1, 20, v44
	v_mul_lo_u16_e32 v1, 0x1e0, v1
	v_sub_u16_e32 v44, v77, v1
	v_lshrrev_b32_e32 v1, 20, v87
	v_mul_lo_u16_e32 v1, 0x1e0, v1
	v_mul_f32_e32 v110, v3, v201
	v_sub_u16_e32 v77, v79, v1
	v_mul_lo_u16_e32 v1, 0x1e0, v139
	v_fmac_f32_e32 v99, v2, v218
	v_fmac_f32_e32 v110, v4, v200
	v_sub_u16_e32 v82, v82, v1
	ds_read2st64_b64 v[1:4], v0 offset0:44 offset1:46
	v_lshlrev_b32_e32 v9, 3, v43
	v_lshlrev_b32_e32 v8, 3, v44
	;; [unrolled: 1-line block ×3, first 2 shown]
	s_waitcnt lgkmcnt(0)
	v_mul_f32_e32 v79, v2, v203
	v_fma_f32 v111, v1, v202, -v79
	v_mul_f32_e32 v112, v1, v203
	v_lshlrev_b32_e32 v1, 3, v82
	global_load_dwordx2 v[184:185], v1, s[10:11] offset:3760
	global_load_dwordx2 v[232:233], v9, s[10:11] offset:3760
	;; [unrolled: 1-line block ×4, first 2 shown]
	v_fmac_f32_e32 v112, v2, v202
	s_waitcnt vmcnt(2)
	v_mul_f32_e32 v1, v4, v233
	v_mul_f32_e32 v118, v3, v233
	v_fma_f32 v117, v3, v232, -v1
	v_fmac_f32_e32 v118, v4, v232
	ds_read2st64_b64 v[1:4], v0 offset0:48 offset1:50
	s_waitcnt vmcnt(1) lgkmcnt(0)
	v_mul_f32_e32 v43, v2, v231
	v_fma_f32 v119, v1, v230, -v43
	v_mul_f32_e32 v120, v1, v231
	s_waitcnt vmcnt(0)
	v_mul_f32_e32 v1, v4, v183
	v_fma_f32 v125, v3, v182, -v1
	v_lshrrev_b32_e32 v1, 20, v88
	v_mul_lo_u16_e32 v1, 0x1e0, v1
	v_sub_u16_e32 v43, v76, v1
	v_lshrrev_b32_e32 v1, 20, v89
	v_mul_lo_u16_e32 v1, 0x1e0, v1
	v_sub_u16_e32 v44, v78, v1
	v_lshrrev_b32_e32 v1, 20, v90
	v_mul_lo_u16_e32 v1, 0x1e0, v1
	v_mul_f32_e32 v126, v3, v183
	v_sub_u16_e32 v76, v80, v1
	v_lshlrev_b32_e32 v12, 3, v43
	v_fmac_f32_e32 v120, v2, v230
	v_fmac_f32_e32 v126, v4, v182
	ds_read2st64_b64 v[1:4], v0 offset0:52 offset1:54
	v_lshlrev_b32_e32 v235, 3, v44
	v_lshlrev_b32_e32 v10, 3, v76
	global_load_dwordx2 v[171:172], v12, s[10:11] offset:3760
	global_load_dwordx2 v[173:174], v235, s[10:11] offset:3760
	;; [unrolled: 1-line block ×4, first 2 shown]
	s_waitcnt lgkmcnt(0)
	v_mul_f32_e32 v77, v2, v185
	v_fma_f32 v127, v1, v184, -v77
	v_mul_f32_e32 v128, v1, v185
	v_fmac_f32_e32 v128, v2, v184
	ds_read2st64_b64 v[76:79], v0 offset1:2
	s_waitcnt vmcnt(3)
	v_mul_f32_e32 v1, v4, v172
	v_mul_f32_e32 v134, v3, v172
	v_fma_f32 v133, v3, v171, -v1
	v_fmac_f32_e32 v134, v4, v171
	ds_read2st64_b64 v[1:4], v0 offset0:56 offset1:58
	s_waitcnt vmcnt(2) lgkmcnt(0)
	v_mul_f32_e32 v43, v2, v174
	v_fma_f32 v135, v1, v173, -v43
	v_mul_f32_e32 v136, v1, v174
	s_waitcnt vmcnt(1)
	v_mul_f32_e32 v1, v4, v176
	v_mul_f32_e32 v138, v3, v176
	v_fmac_f32_e32 v136, v2, v173
	v_fma_f32 v137, v3, v175, -v1
	v_fmac_f32_e32 v138, v4, v175
	ds_read2st64_b64 v[1:4], v0 offset0:28 offset1:30
	s_waitcnt vmcnt(0) lgkmcnt(0)
	v_mul_f32_e32 v43, v4, v164
	v_mul_f32_e32 v44, v3, v164
	v_fma_f32 v43, v3, v163, -v43
	v_fmac_f32_e32 v44, v4, v163
	v_sub_f32_e32 v3, v76, v43
	v_sub_f32_e32 v4, v77, v44
	;; [unrolled: 1-line block ×4, first 2 shown]
	v_fma_f32 v80, v76, 2.0, -v3
	v_fma_f32 v81, v77, 2.0, -v4
	;; [unrolled: 1-line block ×4, first 2 shown]
	ds_read2st64_b64 v[76:79], v0 offset0:4 offset1:6
	v_sub_f32_e32 v137, v1, v137
	v_sub_f32_e32 v138, v2, v138
	v_fma_f32 v1, v1, 2.0, -v137
	v_fma_f32 v2, v2, 2.0, -v138
	s_waitcnt lgkmcnt(0)
	v_sub_f32_e32 v88, v76, v84
	v_sub_f32_e32 v89, v77, v92
	;; [unrolled: 1-line block ×4, first 2 shown]
	v_fma_f32 v92, v76, 2.0, -v88
	v_fma_f32 v93, v77, 2.0, -v89
	;; [unrolled: 1-line block ×4, first 2 shown]
	ds_read2st64_b64 v[76:79], v0 offset0:8 offset1:10
	v_add_u32_e32 v6, 0x800, v0
	v_mov_b32_e32 v46, v49
	s_waitcnt lgkmcnt(0)
	v_sub_f32_e32 v96, v76, v96
	v_sub_f32_e32 v97, v77, v97
	v_sub_f32_e32 v98, v78, v98
	v_sub_f32_e32 v99, v79, v99
	v_fma_f32 v105, v76, 2.0, -v96
	v_fma_f32 v106, v77, 2.0, -v97
	v_fma_f32 v107, v78, 2.0, -v98
	v_fma_f32 v108, v79, 2.0, -v99
	ds_read2st64_b64 v[76:79], v0 offset0:12 offset1:14
	s_waitcnt lgkmcnt(0)
	v_sub_f32_e32 v109, v76, v100
	v_sub_f32_e32 v110, v77, v110
	v_sub_f32_e32 v111, v78, v111
	v_sub_f32_e32 v112, v79, v112
	v_fma_f32 v113, v76, 2.0, -v109
	v_fma_f32 v114, v77, 2.0, -v110
	v_fma_f32 v115, v78, 2.0, -v111
	v_fma_f32 v116, v79, 2.0, -v112
	ds_read2st64_b64 v[76:79], v0 offset0:16 offset1:18
	;; [unrolled: 10-line block ×4, first 2 shown]
	s_waitcnt lgkmcnt(0)
	s_barrier
	ds_write2_b64 v6, v[92:93], v[3:4] offset1:224
	v_mov_b32_e32 v3, 0x3c0
	v_cndmask_b32_e32 v3, 0, v3, vcc
	v_add_lshl_u32 v3, v3, v5, 3
	ds_write2st64_b64 v0, v[80:81], v[86:87] offset1:2
	ds_write2st64_b64 v177, v[43:44], v[88:89] offset0:9 offset1:11
	buffer_store_dword v3, off, s[20:23], 0 offset:744 ; 4-byte Folded Spill
	ds_write_b64 v3, v[94:95]
	ds_write_b64 v3, v[90:91] offset:3840
	ds_write2st64_b64 v177, v[105:106], v[107:108] offset0:15 offset1:17
	v_add_u32_e32 v3, 0x2700, v0
	ds_write2_b64 v3, v[113:114], v[96:97] offset1:224
	ds_write2st64_b64 v0, v[98:99], v[109:110] offset0:25 offset1:27
	v_mad_legacy_u16 v3, v51, s9, v52
	v_lshlrev_b32_e32 v3, 3, v3
	buffer_store_dword v3, off, s[20:23], 0 offset:760 ; 4-byte Folded Spill
	ds_write_b64 v3, v[115:116]
	ds_write_b64 v3, v[111:112] offset:3840
	v_mad_legacy_u16 v3, v139, s9, v82
	s_movk_i32 s9, 0x2000
	v_sub_f32_e32 v133, v76, v133
	v_sub_f32_e32 v134, v77, v134
	v_add_co_u32_e32 v5, vcc, s9, v47
	v_sub_f32_e32 v135, v78, v135
	v_sub_f32_e32 v136, v79, v136
	v_fma_f32 v76, v76, 2.0, -v133
	v_fma_f32 v77, v77, 2.0, -v134
	v_lshlrev_b32_e32 v3, 3, v3
	v_addc_co_u32_e32 v6, vcc, 0, v83, vcc
	v_fma_f32 v78, v78, 2.0, -v135
	v_fma_f32 v79, v79, 2.0, -v136
	buffer_store_dword v9, off, s[20:23], 0 offset:756 ; 4-byte Folded Spill
	ds_write_b64 v9, v[121:122] offset:15360
	ds_write_b64 v9, v[117:118] offset:19200
	buffer_store_dword v8, off, s[20:23], 0 offset:752 ; 4-byte Folded Spill
	ds_write_b64 v8, v[123:124] offset:15360
	ds_write_b64 v8, v[119:120] offset:19200
	;; [unrolled: 3-line block ×3, first 2 shown]
	buffer_store_dword v3, off, s[20:23], 0 offset:772 ; 4-byte Folded Spill
	ds_write_b64 v3, v[131:132]
	ds_write_b64 v3, v[127:128] offset:3840
	buffer_store_dword v12, off, s[20:23], 0 offset:768 ; 4-byte Folded Spill
	ds_write_b64 v12, v[76:77] offset:23040
	ds_write_b64 v12, v[133:134] offset:26880
	ds_write_b64 v235, v[78:79] offset:23040
	ds_write_b64 v235, v[135:136] offset:26880
	buffer_store_dword v10, off, s[20:23], 0 offset:764 ; 4-byte Folded Spill
	ds_write_b64 v10, v[1:2] offset:23040
	ds_write_b64 v10, v[137:138] offset:26880
	s_waitcnt vmcnt(0) lgkmcnt(0)
	s_barrier
	global_load_dwordx2 v[165:166], v[5:6], off offset:432
	global_load_dwordx2 v[169:170], v[5:6], off offset:944
	;; [unrolled: 1-line block ×3, first 2 shown]
	ds_read2st64_b64 v[1:4], v0 offset0:32 offset1:34
	global_load_dwordx2 v[153:154], v[5:6], off offset:1456
	global_load_dwordx2 v[161:162], v[5:6], off offset:2992
	;; [unrolled: 1-line block ×4, first 2 shown]
	s_movk_i32 s9, 0x3000
	s_waitcnt vmcnt(6) lgkmcnt(0)
	v_mul_f32_e32 v43, v2, v166
	v_fma_f32 v48, v1, v165, -v43
	v_mul_f32_e32 v50, v1, v166
	s_waitcnt vmcnt(3)
	v_mul_f32_e32 v1, v4, v154
	v_mul_f32_e32 v52, v3, v154
	v_fmac_f32_e32 v50, v2, v165
	v_fma_f32 v51, v3, v153, -v1
	v_fmac_f32_e32 v52, v4, v153
	ds_read2st64_b64 v[1:4], v0 offset0:36 offset1:38
	s_waitcnt vmcnt(0) lgkmcnt(0)
	v_mul_f32_e32 v43, v2, v150
	v_fma_f32 v82, v1, v149, -v43
	v_add_co_u32_e32 v43, vcc, s9, v47
	v_addc_co_u32_e32 v44, vcc, 0, v83, vcc
	global_load_dwordx2 v[147:148], v[5:6], off offset:3504
	global_load_dwordx2 v[157:158], v[43:44], off offset:944
	;; [unrolled: 1-line block ×4, first 2 shown]
	v_mul_f32_e32 v87, v1, v150
	v_fmac_f32_e32 v87, v2, v149
	s_movk_i32 s9, 0xffc0
	s_waitcnt vmcnt(3)
	v_mul_f32_e32 v1, v4, v148
	v_mul_f32_e32 v93, v3, v148
	v_fma_f32 v92, v3, v147, -v1
	v_fmac_f32_e32 v93, v4, v147
	ds_read2st64_b64 v[1:4], v0 offset0:40 offset1:42
	global_load_dwordx2 v[143:144], v[43:44], off offset:1456
	global_load_dwordx2 v[151:152], v[43:44], off offset:1968
	;; [unrolled: 1-line block ×3, first 2 shown]
	ds_read2st64_b64 v[76:79], v0 offset1:2
	s_waitcnt vmcnt(3) lgkmcnt(1)
	v_mul_f32_e32 v5, v2, v146
	v_fma_f32 v94, v1, v145, -v5
	v_mul_f32_e32 v95, v1, v146
	v_fmac_f32_e32 v95, v2, v145
	s_waitcnt vmcnt(2)
	v_mul_f32_e32 v1, v4, v144
	v_fma_f32 v100, v3, v143, -v1
	v_add_co_u32_e32 v1, vcc, s9, v234
	v_addc_co_u32_e64 v2, s[14:15], 0, -1, vcc
	v_cmp_gt_u64_e32 vcc, s[12:13], v[45:46]
	v_mul_f32_e32 v106, v3, v144
	v_cndmask_b32_e32 v5, v1, v45, vcc
	v_cndmask_b32_e64 v6, v2, 0, vcc
	v_lshlrev_b64 v[1:2], 3, v[5:6]
	v_fmac_f32_e32 v106, v4, v143
	v_add_co_u32_e32 v1, vcc, s10, v1
	v_addc_co_u32_e32 v2, vcc, v85, v2, vcc
	v_add_co_u32_e32 v1, vcc, s8, v1
	v_addc_co_u32_e32 v2, vcc, 0, v2, vcc
	global_load_dwordx2 v[141:142], v[1:2], off offset:3504
	ds_read2st64_b64 v[1:4], v0 offset0:44 offset1:46
	s_mov_b64 s[8:9], 0x3bf
	v_cmp_lt_u64_e32 vcc, s[8:9], v[45:46]
	s_movk_i32 s8, 0x4000
	s_waitcnt lgkmcnt(0)
	v_mul_f32_e32 v114, v3, v168
	v_fmac_f32_e32 v114, v4, v167
	s_waitcnt vmcnt(0)
	v_mul_f32_e32 v6, v2, v142
	v_fma_f32 v6, v1, v141, -v6
	v_mul_f32_e32 v108, v1, v142
	v_mul_f32_e32 v1, v4, v168
	v_fmac_f32_e32 v108, v2, v141
	v_fma_f32 v113, v3, v167, -v1
	ds_read2st64_b64 v[1:4], v0 offset0:48 offset1:50
	s_waitcnt lgkmcnt(0)
	v_mul_f32_e32 v49, v2, v170
	v_fma_f32 v115, v1, v169, -v49
	v_mul_f32_e32 v116, v1, v170
	v_mul_f32_e32 v1, v4, v160
	v_mul_f32_e32 v122, v3, v160
	v_fmac_f32_e32 v116, v2, v169
	v_fma_f32 v121, v3, v159, -v1
	v_fmac_f32_e32 v122, v4, v159
	ds_read2st64_b64 v[1:4], v0 offset0:52 offset1:54
	s_waitcnt lgkmcnt(0)
	v_mul_f32_e32 v49, v2, v162
	v_fma_f32 v123, v1, v161, -v49
	v_mul_f32_e32 v127, v1, v162
	v_mul_f32_e32 v1, v4, v156
	v_mul_f32_e32 v133, v3, v156
	v_fmac_f32_e32 v127, v2, v161
	v_fma_f32 v132, v3, v155, -v1
	v_fmac_f32_e32 v133, v4, v155
	;; [unrolled: 10-line block ×3, first 2 shown]
	ds_read2st64_b64 v[1:4], v0 offset0:28 offset1:30
	s_waitcnt lgkmcnt(0)
	v_mul_f32_e32 v41, v4, v125
	v_mul_f32_e32 v42, v3, v125
	v_fma_f32 v41, v3, v124, -v41
	v_fmac_f32_e32 v42, v4, v124
	v_sub_f32_e32 v3, v76, v41
	v_sub_f32_e32 v4, v77, v42
	;; [unrolled: 1-line block ×4, first 2 shown]
	v_fma_f32 v48, v76, 2.0, -v3
	v_fma_f32 v49, v77, 2.0, -v4
	;; [unrolled: 1-line block ×4, first 2 shown]
	ds_read2st64_b64 v[76:79], v0 offset0:4 offset1:6
	v_sub_f32_e32 v136, v1, v136
	v_sub_f32_e32 v137, v2, v137
	v_fma_f32 v1, v1, 2.0, -v136
	v_fma_f32 v2, v2, 2.0, -v137
	s_waitcnt lgkmcnt(0)
	v_sub_f32_e32 v84, v76, v51
	v_sub_f32_e32 v85, v77, v52
	v_sub_f32_e32 v86, v78, v82
	v_sub_f32_e32 v87, v79, v87
	v_fma_f32 v88, v76, 2.0, -v84
	v_fma_f32 v89, v77, 2.0, -v85
	v_fma_f32 v90, v78, 2.0, -v86
	v_fma_f32 v91, v79, 2.0, -v87
	ds_read2st64_b64 v[76:79], v0 offset0:8 offset1:10
	s_waitcnt lgkmcnt(0)
	v_sub_f32_e32 v92, v76, v92
	v_sub_f32_e32 v93, v77, v93
	v_sub_f32_e32 v94, v78, v94
	v_sub_f32_e32 v95, v79, v95
	v_fma_f32 v96, v76, 2.0, -v92
	v_fma_f32 v97, v77, 2.0, -v93
	v_fma_f32 v98, v78, 2.0, -v94
	v_fma_f32 v99, v79, 2.0, -v95
	ds_read2st64_b64 v[76:79], v0 offset0:12 offset1:14
	;; [unrolled: 10-line block ×5, first 2 shown]
	s_waitcnt lgkmcnt(0)
	s_barrier
	ds_write2st64_b64 v0, v[48:49], v[80:81] offset1:2
	ds_write2st64_b64 v0, v[41:42], v[84:85] offset0:17 offset1:19
	ds_write2st64_b64 v0, v[88:89], v[90:91] offset0:4 offset1:6
	;; [unrolled: 1-line block ×6, first 2 shown]
	v_mov_b32_e32 v3, 0x780
	v_cndmask_b32_e32 v3, 0, v3, vcc
	v_sub_f32_e32 v132, v76, v132
	v_sub_f32_e32 v133, v77, v133
	;; [unrolled: 1-line block ×4, first 2 shown]
	v_add_lshl_u32 v3, v3, v5, 3
	v_add_co_u32_e32 v5, vcc, s8, v47
	v_fma_f32 v76, v76, 2.0, -v132
	v_fma_f32 v77, v77, 2.0, -v133
	;; [unrolled: 1-line block ×4, first 2 shown]
	buffer_store_dword v3, off, s[20:23], 0 offset:776 ; 4-byte Folded Spill
	ds_write2st64_b64 v3, v[111:112], v[107:108] offset1:15
	ds_write2st64_b64 v0, v[117:118], v[119:120] offset0:31 offset1:33
	ds_write2st64_b64 v0, v[115:116], v[121:122] offset0:48 offset1:50
	;; [unrolled: 1-line block ×7, first 2 shown]
	s_waitcnt vmcnt(0) lgkmcnt(0)
	s_barrier
	v_addc_co_u32_e32 v6, vcc, 0, v83, vcc
	global_load_dwordx2 v[135:136], v[43:44], off offset:4016
	global_load_dwordx2 v[137:138], v[5:6], off offset:944
	;; [unrolled: 1-line block ×3, first 2 shown]
	ds_read2st64_b64 v[1:4], v0 offset0:32 offset1:34
	s_movk_i32 s8, 0x5000
	s_waitcnt vmcnt(2) lgkmcnt(0)
	v_mul_f32_e32 v41, v2, v136
	v_fma_f32 v45, v1, v135, -v41
	v_mul_f32_e32 v46, v1, v136
	s_waitcnt vmcnt(1)
	v_mul_f32_e32 v1, v4, v138
	v_mul_f32_e32 v50, v3, v138
	v_fmac_f32_e32 v46, v2, v135
	v_fma_f32 v49, v3, v137, -v1
	v_fmac_f32_e32 v50, v4, v137
	ds_read2st64_b64 v[1:4], v0 offset0:36 offset1:38
	global_load_dwordx2 v[126:127], v[5:6], off offset:2992
	global_load_dwordx2 v[128:129], v[5:6], off offset:4016
	v_add_co_u32_e32 v5, vcc, s8, v47
	v_addc_co_u32_e32 v6, vcc, 0, v83, vcc
	global_load_dwordx2 v[130:131], v[5:6], off offset:944
	global_load_dwordx2 v[133:134], v[5:6], off offset:1968
	s_waitcnt vmcnt(4) lgkmcnt(0)
	v_mul_f32_e32 v41, v2, v140
	v_fma_f32 v51, v1, v139, -v41
	v_mul_f32_e32 v52, v1, v140
	v_fmac_f32_e32 v52, v2, v139
	s_movk_i32 s8, 0x6000
	s_waitcnt vmcnt(3)
	v_mul_f32_e32 v1, v4, v127
	v_mul_f32_e32 v85, v3, v127
	v_fma_f32 v84, v3, v126, -v1
	v_fmac_f32_e32 v85, v4, v126
	ds_read2st64_b64 v[1:4], v0 offset0:40 offset1:42
	s_waitcnt vmcnt(2) lgkmcnt(0)
	v_mul_f32_e32 v41, v2, v129
	v_fma_f32 v86, v1, v128, -v41
	v_mul_f32_e32 v87, v1, v129
	s_waitcnt vmcnt(1)
	v_mul_f32_e32 v1, v4, v131
	v_mul_f32_e32 v93, v3, v131
	v_fmac_f32_e32 v87, v2, v128
	v_fma_f32 v92, v3, v130, -v1
	v_fmac_f32_e32 v93, v4, v130
	ds_read2st64_b64 v[1:4], v0 offset0:44 offset1:46
	global_load_dwordx2 v[116:117], v[5:6], off offset:2992
	global_load_dwordx2 v[118:119], v[5:6], off offset:4016
	v_add_co_u32_e32 v5, vcc, s8, v47
	v_addc_co_u32_e32 v6, vcc, 0, v83, vcc
	global_load_dwordx2 v[120:121], v[5:6], off offset:944
	global_load_dwordx2 v[122:123], v[5:6], off offset:1968
	s_waitcnt vmcnt(4) lgkmcnt(0)
	v_mul_f32_e32 v41, v2, v134
	v_fma_f32 v94, v1, v133, -v41
	v_mul_f32_e32 v95, v1, v134
	v_fmac_f32_e32 v95, v2, v133
	s_movk_i32 s8, 0x7000
	s_waitcnt vmcnt(3)
	v_mul_f32_e32 v1, v4, v117
	v_mul_f32_e32 v106, v3, v117
	v_fma_f32 v100, v3, v116, -v1
	v_fmac_f32_e32 v106, v4, v116
	ds_read2st64_b64 v[1:4], v0 offset0:48 offset1:50
	s_waitcnt vmcnt(2) lgkmcnt(0)
	v_mul_f32_e32 v41, v2, v119
	v_fma_f32 v107, v1, v118, -v41
	v_mul_f32_e32 v132, v1, v119
	s_waitcnt vmcnt(1)
	v_mul_f32_e32 v1, v4, v121
	v_fma_f32 v195, v3, v120, -v1
	v_add_co_u32_e32 v1, vcc, s8, v47
	v_fmac_f32_e32 v132, v2, v118
	v_addc_co_u32_e32 v2, vcc, 0, v83, vcc
	global_load_dwordx2 v[110:111], v[5:6], off offset:2992
	global_load_dwordx2 v[112:113], v[5:6], off offset:4016
	;; [unrolled: 1-line block ×4, first 2 shown]
	v_mul_f32_e32 v196, v3, v121
	v_fmac_f32_e32 v196, v4, v120
	ds_read2st64_b64 v[1:4], v0 offset0:52 offset1:54
	ds_read2st64_b64 v[41:44], v0 offset1:2
	s_waitcnt vmcnt(4) lgkmcnt(1)
	v_mul_f32_e32 v5, v2, v123
	v_fma_f32 v206, v1, v122, -v5
	v_mul_f32_e32 v207, v1, v123
	v_fmac_f32_e32 v207, v2, v122
	s_waitcnt vmcnt(3)
	v_mul_f32_e32 v1, v4, v111
	v_mul_f32_e32 v213, v3, v111
	v_fma_f32 v212, v3, v110, -v1
	v_fmac_f32_e32 v213, v4, v110
	ds_read2st64_b64 v[1:4], v0 offset0:56 offset1:58
	s_waitcnt vmcnt(2) lgkmcnt(0)
	v_mul_f32_e32 v5, v2, v113
	v_fma_f32 v7, v1, v112, -v5
	v_mul_f32_e32 v8, v1, v113
	s_waitcnt vmcnt(1)
	v_mul_f32_e32 v1, v4, v115
	v_mul_f32_e32 v10, v3, v115
	v_fmac_f32_e32 v8, v2, v112
	v_fma_f32 v9, v3, v114, -v1
	v_fmac_f32_e32 v10, v4, v114
	ds_read2st64_b64 v[1:4], v0 offset0:28 offset1:30
	s_waitcnt vmcnt(0) lgkmcnt(0)
	v_mul_f32_e32 v5, v4, v109
	v_mul_f32_e32 v6, v3, v109
	v_fma_f32 v5, v3, v108, -v5
	v_fmac_f32_e32 v6, v4, v108
	v_sub_f32_e32 v3, v41, v5
	v_sub_f32_e32 v4, v42, v6
	;; [unrolled: 1-line block ×4, first 2 shown]
	v_fma_f32 v45, v41, 2.0, -v3
	v_fma_f32 v46, v42, 2.0, -v4
	;; [unrolled: 1-line block ×4, first 2 shown]
	ds_read2st64_b64 v[41:44], v0 offset0:4 offset1:6
	s_waitcnt lgkmcnt(0)
	v_sub_f32_e32 v76, v41, v49
	v_sub_f32_e32 v77, v42, v50
	;; [unrolled: 1-line block ×4, first 2 shown]
	v_fma_f32 v80, v41, 2.0, -v76
	v_fma_f32 v81, v42, 2.0, -v77
	;; [unrolled: 1-line block ×4, first 2 shown]
	ds_read2st64_b64 v[41:44], v0 offset0:8 offset1:10
	v_sub_f32_e32 v51, v1, v9
	v_sub_f32_e32 v52, v2, v10
	v_fma_f32 v1, v1, 2.0, -v51
	v_fma_f32 v2, v2, 2.0, -v52
	s_waitcnt lgkmcnt(0)
	v_sub_f32_e32 v84, v41, v84
	v_sub_f32_e32 v85, v42, v85
	v_sub_f32_e32 v86, v43, v86
	v_sub_f32_e32 v87, v44, v87
	v_fma_f32 v88, v41, 2.0, -v84
	v_fma_f32 v89, v42, 2.0, -v85
	v_fma_f32 v90, v43, 2.0, -v86
	v_fma_f32 v91, v44, 2.0, -v87
	ds_read2st64_b64 v[41:44], v0 offset0:12 offset1:14
	s_waitcnt lgkmcnt(0)
	v_sub_f32_e32 v92, v41, v92
	v_sub_f32_e32 v93, v42, v93
	v_sub_f32_e32 v94, v43, v94
	v_sub_f32_e32 v95, v44, v95
	v_fma_f32 v96, v41, 2.0, -v92
	v_fma_f32 v97, v42, 2.0, -v93
	v_fma_f32 v98, v43, 2.0, -v94
	v_fma_f32 v99, v44, 2.0, -v95
	ds_read2st64_b64 v[41:44], v0 offset0:16 offset1:18
	;; [unrolled: 10-line block ×4, first 2 shown]
	s_waitcnt lgkmcnt(0)
	v_sub_f32_e32 v212, v41, v212
	v_sub_f32_e32 v213, v42, v213
	;; [unrolled: 1-line block ×4, first 2 shown]
	v_fma_f32 v41, v41, 2.0, -v212
	v_fma_f32 v42, v42, 2.0, -v213
	;; [unrolled: 1-line block ×4, first 2 shown]
	ds_write2st64_b64 v0, v[45:46], v[47:48] offset1:2
	ds_write2st64_b64 v0, v[5:6], v[76:77] offset0:32 offset1:34
	ds_write2st64_b64 v0, v[80:81], v[82:83] offset0:4 offset1:6
	;; [unrolled: 1-line block ×14, first 2 shown]
	s_waitcnt lgkmcnt(0)
	s_barrier
	global_load_dwordx2 v[5:6], v0, s[6:7]
	global_load_dwordx2 v[41:42], v0, s[6:7] offset:1024
	global_load_dwordx2 v[43:44], v0, s[6:7] offset:2048
	ds_read2st64_b64 v[1:4], v0 offset1:2
	s_waitcnt vmcnt(2) lgkmcnt(0)
	v_mul_f32_e32 v7, v2, v6
	v_fma_f32 v45, v1, v5, -v7
	v_mul_f32_e32 v46, v1, v6
	s_waitcnt vmcnt(1)
	v_mul_f32_e32 v1, v4, v42
	v_fmac_f32_e32 v46, v2, v5
	v_fma_f32 v5, v3, v41, -v1
	buffer_load_dword v1, off, s[20:23], 0 offset:388 ; 4-byte Folded Reload
	v_mul_f32_e32 v6, v3, v42
	v_fmac_f32_e32 v6, v4, v41
	s_waitcnt vmcnt(0)
	global_load_dwordx2 v[41:42], v1, s[6:7]
	global_load_dwordx2 v[47:48], v217, s[6:7]
	global_load_dwordx2 v[49:50], v197, s[6:7]
	global_load_dwordx2 v[51:52], v54, s[6:7]
	ds_read2st64_b64 v[1:4], v0 offset0:12 offset1:14
	s_waitcnt vmcnt(3) lgkmcnt(0)
	v_mul_f32_e32 v7, v2, v42
	v_mul_f32_e32 v77, v1, v42
	v_fma_f32 v76, v1, v41, -v7
	v_fmac_f32_e32 v77, v2, v41
	global_load_dwordx2 v[1:2], v59, s[6:7]
	global_load_dwordx2 v[41:42], v72, s[6:7]
	;; [unrolled: 1-line block ×3, first 2 shown]
	s_waitcnt vmcnt(2)
	v_mul_f32_e32 v7, v4, v2
	v_mul_f32_e32 v81, v3, v2
	v_fma_f32 v80, v3, v1, -v7
	v_fmac_f32_e32 v81, v4, v1
	ds_read2st64_b64 v[1:4], v0 offset0:24 offset1:26
	s_waitcnt lgkmcnt(0)
	v_mul_f32_e32 v7, v2, v50
	v_fma_f32 v82, v1, v49, -v7
	v_mul_f32_e32 v83, v1, v50
	s_waitcnt vmcnt(1)
	v_mul_f32_e32 v1, v4, v42
	v_mul_f32_e32 v50, v3, v42
	v_fmac_f32_e32 v83, v2, v49
	v_fma_f32 v49, v3, v41, -v1
	v_fmac_f32_e32 v50, v4, v41
	global_load_dwordx2 v[41:42], v53, s[6:7]
	s_nop 0
	global_load_dwordx2 v[53:54], v55, s[6:7]
	s_nop 0
	global_load_dwordx2 v[55:56], v56, s[6:7]
	s_nop 0
	global_load_dwordx2 v[58:59], v58, s[6:7]
	ds_read2st64_b64 v[1:4], v0 offset0:36 offset1:38
	s_waitcnt vmcnt(3) lgkmcnt(0)
	v_mul_f32_e32 v7, v2, v42
	v_mul_f32_e32 v85, v1, v42
	v_fma_f32 v84, v1, v41, -v7
	v_fmac_f32_e32 v85, v2, v41
	global_load_dwordx2 v[1:2], v65, s[6:7]
	global_load_dwordx2 v[41:42], v69, s[6:7]
	s_nop 0
	global_load_dwordx2 v[67:68], v67, s[6:7]
	s_waitcnt vmcnt(2)
	v_mul_f32_e32 v7, v4, v2
	v_mul_f32_e32 v87, v3, v2
	v_fma_f32 v86, v3, v1, -v7
	v_fmac_f32_e32 v87, v4, v1
	ds_read2st64_b64 v[1:4], v0 offset0:48 offset1:50
	s_waitcnt lgkmcnt(0)
	v_mul_f32_e32 v7, v2, v56
	v_fma_f32 v88, v1, v55, -v7
	v_mul_f32_e32 v89, v1, v56
	s_waitcnt vmcnt(1)
	v_mul_f32_e32 v1, v4, v42
	v_mul_f32_e32 v56, v3, v42
	v_fmac_f32_e32 v89, v2, v55
	v_fma_f32 v55, v3, v41, -v1
	v_fmac_f32_e32 v56, v4, v41
	global_load_dwordx2 v[41:42], v0, s[6:7] offset:3072
	ds_read2st64_b64 v[1:4], v0 offset0:4 offset1:6
	s_waitcnt vmcnt(0) lgkmcnt(0)
	v_mul_f32_e32 v7, v4, v42
	v_fma_f32 v90, v3, v41, -v7
	v_mul_f32_e32 v91, v3, v42
	v_mul_f32_e32 v3, v2, v44
	;; [unrolled: 1-line block ×3, first 2 shown]
	v_fmac_f32_e32 v91, v4, v41
	v_fma_f32 v41, v1, v43, -v3
	v_fmac_f32_e32 v42, v2, v43
	global_load_dwordx2 v[43:44], v57, s[6:7]
	ds_read2st64_b64 v[1:4], v0 offset0:8 offset1:10
	s_waitcnt vmcnt(0) lgkmcnt(0)
	v_mul_f32_e32 v7, v2, v44
	v_mul_f32_e32 v93, v1, v44
	v_fma_f32 v92, v1, v43, -v7
	v_fmac_f32_e32 v93, v2, v43
	global_load_dwordx2 v[1:2], v64, s[6:7]
	global_load_dwordx2 v[43:44], v71, s[6:7]
	s_nop 0
	global_load_dwordx2 v[64:65], v74, s[6:7]
	s_waitcnt vmcnt(2)
	v_mul_f32_e32 v7, v4, v2
	v_mul_f32_e32 v72, v3, v2
	v_fma_f32 v71, v3, v1, -v7
	v_fmac_f32_e32 v72, v4, v1
	ds_read2st64_b64 v[1:4], v0 offset0:16 offset1:18
	s_waitcnt lgkmcnt(0)
	v_mul_f32_e32 v7, v4, v48
	v_fma_f32 v94, v3, v47, -v7
	v_mul_f32_e32 v95, v3, v48
	s_waitcnt vmcnt(1)
	v_mul_f32_e32 v3, v2, v44
	v_mul_f32_e32 v48, v1, v44
	v_fmac_f32_e32 v95, v4, v47
	v_fma_f32 v47, v1, v43, -v3
	v_fmac_f32_e32 v48, v2, v43
	ds_read2st64_b64 v[1:4], v0 offset0:20 offset1:22
	s_waitcnt lgkmcnt(0)
	v_mul_f32_e32 v7, v2, v79
	v_fma_f32 v43, v1, v78, -v7
	v_mul_f32_e32 v44, v1, v79
	s_waitcnt vmcnt(0)
	v_mul_f32_e32 v1, v4, v65
	v_mul_f32_e32 v79, v3, v65
	v_fmac_f32_e32 v44, v2, v78
	v_fma_f32 v78, v3, v64, -v1
	v_fmac_f32_e32 v79, v4, v64
	ds_read2st64_b64 v[1:4], v0 offset0:28 offset1:30
	s_waitcnt lgkmcnt(0)
	v_mul_f32_e32 v7, v4, v52
	v_mul_f32_e32 v65, v3, v52
	v_fma_f32 v64, v3, v51, -v7
	v_fmac_f32_e32 v65, v4, v51
	global_load_dwordx2 v[3:4], v63, s[6:7]
	global_load_dwordx2 v[51:52], v70, s[6:7]
	s_nop 0
	global_load_dwordx2 v[69:70], v73, s[6:7]
	s_nop 0
	global_load_dwordx2 v[73:74], v75, s[6:7]
	global_load_dwordx2 v[98:99], v61, s[6:7]
	s_waitcnt vmcnt(4)
	v_mul_f32_e32 v7, v2, v4
	v_mul_f32_e32 v97, v1, v4
	v_fma_f32 v96, v1, v3, -v7
	v_fmac_f32_e32 v97, v2, v3
	ds_read2st64_b64 v[1:4], v0 offset0:32 offset1:34
	s_waitcnt vmcnt(0) lgkmcnt(0)
	v_mul_f32_e32 v7, v2, v99
	v_fma_f32 v105, v1, v98, -v7
	v_mul_f32_e32 v106, v1, v99
	v_mul_f32_e32 v1, v4, v52
	v_mul_f32_e32 v99, v3, v52
	v_fmac_f32_e32 v106, v2, v98
	v_fma_f32 v98, v3, v51, -v1
	v_fmac_f32_e32 v99, v4, v51
	ds_read2st64_b64 v[1:4], v0 offset0:40 offset1:42
	s_waitcnt lgkmcnt(0)
	v_mul_f32_e32 v7, v4, v54
	v_fma_f32 v51, v3, v53, -v7
	v_mul_f32_e32 v52, v3, v54
	v_mul_f32_e32 v3, v2, v70
	v_mul_f32_e32 v54, v1, v70
	v_fmac_f32_e32 v52, v4, v53
	v_fma_f32 v53, v1, v69, -v3
	v_fmac_f32_e32 v54, v2, v69
	ds_read2st64_b64 v[1:4], v0 offset0:44 offset1:46
	s_waitcnt lgkmcnt(0)
	;; [unrolled: 10-line block ×3, first 2 shown]
	v_mul_f32_e32 v7, v4, v59
	v_mul_f32_e32 v74, v3, v59
	v_fma_f32 v73, v3, v58, -v7
	v_fmac_f32_e32 v74, v4, v58
	global_load_dwordx2 v[3:4], v62, s[6:7]
	global_load_dwordx2 v[57:58], v66, s[6:7]
	s_waitcnt vmcnt(1)
	v_mul_f32_e32 v7, v2, v4
	global_load_dwordx2 v[59:60], v60, s[6:7]
	v_mul_f32_e32 v62, v1, v4
	v_fma_f32 v61, v1, v3, -v7
	v_fmac_f32_e32 v62, v2, v3
	ds_read2st64_b64 v[1:4], v0 offset0:56 offset1:58
	s_waitcnt vmcnt(0) lgkmcnt(0)
	v_mul_f32_e32 v7, v2, v60
	v_mul_f32_e32 v190, v1, v60
	v_fma_f32 v189, v1, v59, -v7
	v_fmac_f32_e32 v190, v2, v59
	v_mul_f32_e32 v1, v4, v58
	v_mul_f32_e32 v2, v3, v58
	v_fma_f32 v1, v3, v57, -v1
	v_fmac_f32_e32 v2, v4, v57
	ds_write2st64_b64 v0, v[45:46], v[5:6] offset1:2
	ds_write2st64_b64 v0, v[76:77], v[80:81] offset0:12 offset1:14
	ds_write2st64_b64 v0, v[82:83], v[49:50] offset0:24 offset1:26
	ds_write2st64_b64 v0, v[84:85], v[86:87] offset0:36 offset1:38
	ds_write2st64_b64 v0, v[88:89], v[55:56] offset0:48 offset1:50
	ds_write2st64_b64 v0, v[41:42], v[90:91] offset0:4 offset1:6
	ds_write2st64_b64 v0, v[92:93], v[71:72] offset0:8 offset1:10
	ds_write2st64_b64 v0, v[47:48], v[94:95] offset0:16 offset1:18
	ds_write2st64_b64 v0, v[43:44], v[78:79] offset0:20 offset1:22
	ds_write2st64_b64 v0, v[96:97], v[64:65] offset0:28 offset1:30
	ds_write2st64_b64 v0, v[105:106], v[98:99] offset0:32 offset1:34
	ds_write2st64_b64 v0, v[53:54], v[51:52] offset0:40 offset1:42
	ds_write2st64_b64 v0, v[69:70], v[67:68] offset0:44 offset1:46
	ds_write2st64_b64 v0, v[61:62], v[73:74] offset0:52 offset1:54
	ds_write2st64_b64 v0, v[189:190], v[1:2] offset0:56 offset1:58
	s_waitcnt lgkmcnt(0)
	s_barrier
	ds_read2st64_b64 v[61:64], v0 offset0:12 offset1:14
	ds_read2st64_b64 v[65:68], v0 offset0:24 offset1:26
	;; [unrolled: 1-line block ×9, first 2 shown]
	s_waitcnt lgkmcnt(7)
	v_sub_f32_e32 v1, v61, v65
	s_waitcnt lgkmcnt(5)
	v_sub_f32_e32 v2, v73, v77
	v_add_f32_e32 v132, v1, v2
	v_sub_f32_e32 v1, v62, v66
	v_sub_f32_e32 v2, v74, v78
	v_add_f32_e32 v196, v1, v2
	s_waitcnt lgkmcnt(3)
	v_sub_f32_e32 v1, v47, v51
	s_waitcnt lgkmcnt(1)
	v_sub_f32_e32 v2, v55, v59
	v_add_f32_e32 v107, v1, v2
	v_sub_f32_e32 v1, v48, v52
	v_sub_f32_e32 v2, v56, v60
	v_add_f32_e32 v106, v1, v2
	v_add_f32_e32 v2, v52, v60
	;; [unrolled: 1-line block ×3, first 2 shown]
	s_waitcnt lgkmcnt(0)
	v_fma_f32 v194, -0.5, v2, v44
	v_fma_f32 v195, -0.5, v1, v43
	v_sub_f32_e32 v197, v47, v55
	v_mov_b32_e32 v2, v194
	ds_read2st64_b64 v[97:100], v0 offset1:2
	v_sub_f32_e32 v5, v48, v56
	v_mov_b32_e32 v1, v195
	v_fmac_f32_e32 v2, 0x3f737871, v197
	v_sub_f32_e32 v207, v51, v59
	v_fmac_f32_e32 v1, 0xbf737871, v5
	v_sub_f32_e32 v193, v52, v60
	v_fmac_f32_e32 v2, 0x3f167918, v207
	v_fmac_f32_e32 v1, 0xbf167918, v193
	;; [unrolled: 1-line block ×4, first 2 shown]
	v_mul_f32_e32 v206, 0xbf167918, v2
	v_fmac_f32_e32 v206, 0x3f4f1bbd, v1
	v_mul_f32_e32 v209, 0x3f167918, v1
	s_waitcnt lgkmcnt(0)
	v_add_f32_e32 v1, v97, v61
	v_add_f32_e32 v1, v1, v65
	;; [unrolled: 1-line block ×5, first 2 shown]
	v_fma_f32 v208, -0.5, v1, v97
	v_add_f32_e32 v1, v98, v62
	v_add_f32_e32 v1, v1, v66
	;; [unrolled: 1-line block ×5, first 2 shown]
	v_fma_f32 v211, -0.5, v1, v98
	v_add_f32_e32 v1, v43, v47
	v_add_f32_e32 v1, v1, v51
	;; [unrolled: 1-line block ×3, first 2 shown]
	v_sub_f32_e32 v192, v62, v74
	v_mov_b32_e32 v210, v208
	v_sub_f32_e32 v217, v61, v73
	v_mov_b32_e32 v213, v211
	v_add_f32_e32 v189, v1, v55
	v_add_f32_e32 v1, v44, v48
	v_fmac_f32_e32 v210, 0xbf737871, v192
	v_sub_f32_e32 v212, v66, v78
	v_fmac_f32_e32 v213, 0x3f737871, v217
	v_sub_f32_e32 v191, v65, v77
	v_add_f32_e32 v1, v1, v52
	v_fmac_f32_e32 v210, 0xbf167918, v212
	v_fmac_f32_e32 v213, 0x3f167918, v191
	v_add_f32_e32 v1, v1, v60
	v_fmac_f32_e32 v209, 0x3f4f1bbd, v2
	v_fmac_f32_e32 v210, 0x3e9e377a, v132
	v_fmac_f32_e32 v213, 0x3e9e377a, v196
	v_add_f32_e32 v190, v1, v56
	v_add_f32_e32 v1, v6, v189
	;; [unrolled: 1-line block ×5, first 2 shown]
	ds_read2st64_b64 v[69:72], v0 offset0:8 offset1:10
	ds_read2st64_b64 v[89:92], v0 offset0:20 offset1:22
	;; [unrolled: 1-line block ×5, first 2 shown]
	s_waitcnt lgkmcnt(0)
	s_barrier
	ds_write_b128 v216, v[1:4]
	v_sub_f32_e32 v2, v77, v73
	buffer_load_dword v77, off, s[20:23], 0 offset:568 ; 4-byte Folded Reload
	v_sub_f32_e32 v1, v65, v61
	v_add_f32_e32 v1, v1, v2
	v_add_f32_e32 v2, v61, v73
	v_fma_f32 v7, -0.5, v2, v97
	v_mov_b32_e32 v8, v7
	v_fmac_f32_e32 v8, 0x3f737871, v212
	v_fmac_f32_e32 v7, 0xbf737871, v212
	v_fmac_f32_e32 v8, 0xbf167918, v192
	v_fmac_f32_e32 v7, 0x3f167918, v192
	v_fmac_f32_e32 v8, 0x3e9e377a, v1
	v_fmac_f32_e32 v7, 0x3e9e377a, v1
	v_sub_f32_e32 v1, v66, v62
	v_sub_f32_e32 v2, v78, v74
	v_add_f32_e32 v1, v1, v2
	v_add_f32_e32 v2, v62, v74
	v_fma_f32 v9, -0.5, v2, v98
	v_mov_b32_e32 v10, v9
	v_fmac_f32_e32 v10, 0xbf737871, v191
	v_fmac_f32_e32 v9, 0x3f737871, v191
	v_fmac_f32_e32 v10, 0x3f167918, v217
	v_fmac_f32_e32 v9, 0xbf167918, v217
	v_fmac_f32_e32 v10, 0x3e9e377a, v1
	v_fmac_f32_e32 v9, 0x3e9e377a, v1
	v_sub_f32_e32 v1, v51, v47
	;; [unrolled: 12-line block ×3, first 2 shown]
	v_sub_f32_e32 v4, v60, v56
	v_add_f32_e32 v1, v1, v4
	v_add_f32_e32 v4, v48, v56
	v_fma_f32 v4, -0.5, v4, v44
	v_mov_b32_e32 v11, v4
	v_fmac_f32_e32 v11, 0xbf737871, v207
	v_fmac_f32_e32 v4, 0x3f737871, v207
	v_fmac_f32_e32 v11, 0x3f167918, v197
	v_fmac_f32_e32 v4, 0xbf167918, v197
	v_fmac_f32_e32 v11, 0x3e9e377a, v1
	v_fmac_f32_e32 v4, 0x3e9e377a, v1
	v_mul_f32_e32 v12, 0xbf737871, v11
	v_mul_f32_e32 v11, 0x3e9e377a, v11
	v_mul_f32_e32 v43, 0xbf737871, v4
	v_mul_f32_e32 v44, 0xbe9e377a, v4
	v_fmac_f32_e32 v194, 0xbf737871, v197
	v_fmac_f32_e32 v12, 0x3e9e377a, v3
	;; [unrolled: 1-line block ×7, first 2 shown]
	v_add_f32_e32 v1, v8, v12
	v_add_f32_e32 v3, v7, v43
	;; [unrolled: 1-line block ×4, first 2 shown]
	v_fmac_f32_e32 v208, 0x3f737871, v192
	v_fmac_f32_e32 v211, 0xbf737871, v217
	;; [unrolled: 1-line block ×4, first 2 shown]
	ds_write_b128 v216, v[1:4] offset:16
	v_sub_f32_e32 v3, v6, v189
	v_fmac_f32_e32 v208, 0x3f167918, v212
	v_fmac_f32_e32 v211, 0xbf167918, v191
	;; [unrolled: 1-line block ×3, first 2 shown]
	v_mul_f32_e32 v5, 0xbf167918, v194
	v_mul_f32_e32 v6, 0xbf4f1bbd, v194
	v_fmac_f32_e32 v208, 0x3e9e377a, v132
	v_fmac_f32_e32 v211, 0x3e9e377a, v196
	;; [unrolled: 1-line block ×4, first 2 shown]
	v_sub_f32_e32 v4, v105, v190
	v_add_f32_e32 v1, v208, v5
	v_add_f32_e32 v2, v211, v6
	ds_write_b128 v216, v[1:4] offset:32
	v_sub_f32_e32 v1, v210, v206
	v_sub_f32_e32 v3, v8, v12
	v_sub_f32_e32 v2, v213, v209
	v_sub_f32_e32 v4, v10, v11
	ds_write_b128 v216, v[1:4] offset:48
	v_sub_f32_e32 v1, v7, v43
	v_sub_f32_e32 v3, v208, v5
	;; [unrolled: 1-line block ×4, first 2 shown]
	ds_write_b128 v216, v[1:4] offset:64
	v_add_f32_e32 v1, v99, v63
	v_add_f32_e32 v2, v100, v64
	;; [unrolled: 1-line block ×6, first 2 shown]
	v_sub_f32_e32 v9, v64, v68
	v_sub_f32_e32 v51, v76, v80
	v_add_f32_e32 v55, v1, v75
	v_add_f32_e32 v56, v2, v76
	v_sub_f32_e32 v1, v89, v93
	v_sub_f32_e32 v2, v81, v85
	v_add_f32_e32 v9, v9, v51
	v_add_f32_e32 v51, v1, v2
	;; [unrolled: 4-line block ×3, first 2 shown]
	v_sub_f32_e32 v4, v63, v67
	v_sub_f32_e32 v6, v67, v63
	v_add_f32_e32 v12, v63, v75
	v_sub_f32_e32 v43, v63, v75
	v_add_f32_e32 v1, v93, v85
	v_fma_f32 v63, -0.5, v2, v70
	v_sub_f32_e32 v10, v68, v64
	v_sub_f32_e32 v11, v64, v76
	v_add_f32_e32 v44, v64, v76
	v_fma_f32 v60, -0.5, v1, v69
	v_sub_f32_e32 v64, v89, v81
	v_mov_b32_e32 v2, v63
	v_sub_f32_e32 v61, v90, v82
	v_mov_b32_e32 v1, v60
	v_fmac_f32_e32 v2, 0x3f737871, v64
	v_sub_f32_e32 v65, v93, v85
	v_fmac_f32_e32 v1, 0xbf737871, v61
	v_sub_f32_e32 v62, v94, v86
	v_fmac_f32_e32 v2, 0x3f167918, v65
	v_fmac_f32_e32 v1, 0xbf167918, v62
	;; [unrolled: 1-line block ×4, first 2 shown]
	v_mul_f32_e32 v66, 0xbf167918, v2
	v_add_f32_e32 v3, v67, v79
	v_sub_f32_e32 v8, v67, v79
	v_fmac_f32_e32 v66, 0x3f4f1bbd, v1
	v_mul_f32_e32 v67, 0x3f167918, v1
	v_add_f32_e32 v1, v69, v89
	v_add_f32_e32 v7, v68, v80
	;; [unrolled: 1-line block ×3, first 2 shown]
	v_sub_f32_e32 v5, v68, v80
	v_fma_f32 v68, -0.5, v3, v99
	v_fma_f32 v7, -0.5, v7, v100
	v_add_f32_e32 v1, v1, v85
	v_sub_f32_e32 v47, v75, v79
	v_sub_f32_e32 v48, v79, v75
	v_mov_b32_e32 v73, v68
	v_mov_b32_e32 v74, v7
	v_add_f32_e32 v75, v1, v81
	v_add_f32_e32 v1, v70, v90
	v_fmac_f32_e32 v73, 0xbf737871, v11
	v_fmac_f32_e32 v74, 0x3f737871, v43
	v_add_f32_e32 v1, v1, v94
	v_add_f32_e32 v47, v4, v47
	v_fmac_f32_e32 v73, 0xbf167918, v5
	v_fmac_f32_e32 v74, 0x3f167918, v8
	v_add_f32_e32 v1, v1, v86
	v_sub_f32_e32 v52, v80, v76
	v_fmac_f32_e32 v67, 0x3f4f1bbd, v2
	v_fmac_f32_e32 v73, 0x3e9e377a, v47
	;; [unrolled: 1-line block ×3, first 2 shown]
	v_add_f32_e32 v76, v1, v82
	v_add_f32_e32 v1, v55, v75
	;; [unrolled: 1-line block ×5, first 2 shown]
	s_waitcnt vmcnt(0)
	ds_write_b128 v77, v[1:4]
	v_add_f32_e32 v1, v6, v48
	v_fma_f32 v6, -0.5, v12, v99
	v_mov_b32_e32 v12, v6
	v_fmac_f32_e32 v12, 0x3f737871, v5
	v_fmac_f32_e32 v6, 0xbf737871, v5
	v_fmac_f32_e32 v12, 0xbf167918, v11
	v_fmac_f32_e32 v6, 0x3f167918, v11
	v_fmac_f32_e32 v100, -0.5, v44
	v_fmac_f32_e32 v12, 0x3e9e377a, v1
	v_fmac_f32_e32 v6, 0x3e9e377a, v1
	v_add_f32_e32 v1, v10, v52
	v_mov_b32_e32 v10, v100
	v_fmac_f32_e32 v10, 0xbf737871, v8
	v_fmac_f32_e32 v100, 0x3f737871, v8
	;; [unrolled: 1-line block ×6, first 2 shown]
	v_sub_f32_e32 v1, v93, v89
	v_sub_f32_e32 v2, v85, v81
	v_add_f32_e32 v1, v1, v2
	v_add_f32_e32 v2, v89, v81
	v_fma_f32 v2, -0.5, v2, v69
	v_mov_b32_e32 v3, v2
	v_fmac_f32_e32 v3, 0x3f737871, v62
	v_fmac_f32_e32 v2, 0xbf737871, v62
	;; [unrolled: 1-line block ×6, first 2 shown]
	v_sub_f32_e32 v1, v94, v90
	v_sub_f32_e32 v4, v86, v82
	v_add_f32_e32 v1, v1, v4
	v_add_f32_e32 v4, v90, v82
	v_fma_f32 v4, -0.5, v4, v70
	v_mov_b32_e32 v44, v4
	v_fmac_f32_e32 v44, 0xbf737871, v65
	v_fmac_f32_e32 v4, 0x3f737871, v65
	;; [unrolled: 1-line block ×9, first 2 shown]
	v_mul_f32_e32 v48, 0xbf737871, v44
	v_mul_f32_e32 v44, 0x3e9e377a, v44
	;; [unrolled: 1-line block ×4, first 2 shown]
	v_fmac_f32_e32 v68, 0x3f737871, v11
	v_fmac_f32_e32 v7, 0xbf737871, v43
	;; [unrolled: 1-line block ×11, first 2 shown]
	v_mul_f32_e32 v5, 0xbf167918, v63
	v_mul_f32_e32 v8, 0xbf4f1bbd, v63
	v_add_f32_e32 v1, v12, v48
	v_add_f32_e32 v3, v6, v52
	;; [unrolled: 1-line block ×4, first 2 shown]
	v_fmac_f32_e32 v68, 0x3e9e377a, v47
	v_fmac_f32_e32 v7, 0x3e9e377a, v9
	;; [unrolled: 1-line block ×4, first 2 shown]
	ds_write_b128 v77, v[1:4] offset:16
	v_sub_f32_e32 v3, v55, v75
	v_sub_f32_e32 v4, v56, v76
	v_add_f32_e32 v1, v68, v5
	v_add_f32_e32 v2, v7, v8
	ds_write_b128 v77, v[1:4] offset:32
	v_sub_f32_e32 v1, v73, v66
	buffer_load_dword v73, off, s[20:23], 0 offset:452 ; 4-byte Folded Reload
	v_sub_f32_e32 v3, v12, v48
	v_sub_f32_e32 v2, v74, v67
	;; [unrolled: 1-line block ×3, first 2 shown]
	ds_write_b128 v77, v[1:4] offset:48
	v_sub_f32_e32 v2, v100, v69
	v_sub_f32_e32 v1, v6, v52
	;; [unrolled: 1-line block ×4, first 2 shown]
	ds_write_b128 v77, v[1:4] offset:64
	v_add_f32_e32 v1, v41, v45
	v_add_f32_e32 v2, v42, v46
	;; [unrolled: 1-line block ×7, first 2 shown]
	v_sub_f32_e32 v5, v50, v58
	v_sub_f32_e32 v4, v45, v49
	;; [unrolled: 1-line block ×3, first 2 shown]
	v_add_f32_e32 v7, v50, v58
	v_sub_f32_e32 v8, v49, v57
	v_sub_f32_e32 v9, v46, v50
	;; [unrolled: 1-line block ×3, first 2 shown]
	v_add_f32_e32 v49, v1, v53
	v_add_f32_e32 v50, v2, v54
	;; [unrolled: 1-line block ×10, first 2 shown]
	v_fma_f32 v51, -0.5, v51, v71
	v_fma_f32 v55, -0.5, v55, v72
	v_sub_f32_e32 v11, v46, v54
	v_add_f32_e32 v12, v45, v53
	v_sub_f32_e32 v43, v45, v53
	v_add_f32_e32 v44, v46, v54
	v_sub_f32_e32 v45, v53, v57
	v_sub_f32_e32 v46, v57, v53
	;; [unrolled: 1-line block ×9, first 2 shown]
	v_add_f32_e32 v67, v1, v83
	v_add_f32_e32 v68, v2, v84
	v_mov_b32_e32 v1, v51
	v_mov_b32_e32 v2, v55
	v_sub_f32_e32 v52, v96, v88
	v_sub_f32_e32 v56, v95, v87
	v_add_f32_e32 v9, v9, v47
	v_add_f32_e32 v47, v53, v63
	;; [unrolled: 1-line block ×3, first 2 shown]
	v_fmac_f32_e32 v1, 0xbf737871, v59
	v_fmac_f32_e32 v2, 0x3f737871, v61
	v_fma_f32 v65, -0.5, v3, v41
	v_fma_f32 v7, -0.5, v7, v42
	v_fmac_f32_e32 v1, 0xbf167918, v52
	v_fmac_f32_e32 v2, 0x3f167918, v56
	v_mov_b32_e32 v69, v65
	v_mov_b32_e32 v70, v7
	v_fmac_f32_e32 v1, 0x3e9e377a, v47
	v_fmac_f32_e32 v2, 0x3e9e377a, v53
	;; [unrolled: 1-line block ×4, first 2 shown]
	v_add_f32_e32 v45, v4, v45
	v_mul_f32_e32 v57, 0xbf167918, v2
	v_mul_f32_e32 v63, 0x3f167918, v1
	v_fmac_f32_e32 v69, 0xbf167918, v5
	v_fmac_f32_e32 v70, 0x3f167918, v8
	;; [unrolled: 1-line block ×6, first 2 shown]
	v_add_f32_e32 v1, v49, v67
	v_add_f32_e32 v3, v69, v57
	;; [unrolled: 1-line block ×4, first 2 shown]
	s_waitcnt vmcnt(0)
	ds_write_b128 v73, v[1:4]
	v_add_f32_e32 v4, v6, v46
	v_fma_f32 v6, -0.5, v12, v41
	v_mov_b32_e32 v12, v6
	v_add_f32_e32 v62, v92, v84
	v_fmac_f32_e32 v12, 0x3f737871, v5
	v_fmac_f32_e32 v6, 0xbf737871, v5
	v_sub_f32_e32 v48, v58, v54
	v_add_f32_e32 v60, v91, v83
	v_fmac_f32_e32 v72, -0.5, v62
	v_fmac_f32_e32 v12, 0xbf167918, v11
	v_fmac_f32_e32 v6, 0x3f167918, v11
	v_fmac_f32_e32 v42, -0.5, v44
	v_fma_f32 v2, -0.5, v60, v71
	v_mov_b32_e32 v3, v72
	v_fmac_f32_e32 v12, 0x3e9e377a, v4
	v_fmac_f32_e32 v6, 0x3e9e377a, v4
	v_add_f32_e32 v4, v10, v48
	v_mov_b32_e32 v10, v42
	v_sub_f32_e32 v58, v96, v92
	v_sub_f32_e32 v66, v88, v84
	v_fmac_f32_e32 v72, 0x3f737871, v56
	v_fmac_f32_e32 v10, 0xbf737871, v8
	;; [unrolled: 1-line block ×3, first 2 shown]
	v_mov_b32_e32 v41, v2
	v_fmac_f32_e32 v3, 0xbf737871, v56
	v_sub_f32_e32 v54, v95, v91
	v_sub_f32_e32 v64, v87, v83
	v_add_f32_e32 v1, v58, v66
	v_fmac_f32_e32 v72, 0xbf167918, v61
	v_fmac_f32_e32 v10, 0x3f167918, v43
	;; [unrolled: 1-line block ×10, first 2 shown]
	v_add_f32_e32 v4, v54, v64
	v_fmac_f32_e32 v41, 0xbf167918, v59
	v_fmac_f32_e32 v2, 0x3f167918, v59
	;; [unrolled: 1-line block ×5, first 2 shown]
	v_mul_f32_e32 v58, 0xbf737871, v72
	v_mul_f32_e32 v60, 0xbe9e377a, v72
	v_fmac_f32_e32 v41, 0x3e9e377a, v4
	v_fmac_f32_e32 v2, 0x3e9e377a, v4
	v_mul_f32_e32 v44, 0xbf737871, v3
	v_mul_f32_e32 v46, 0x3e9e377a, v3
	v_fmac_f32_e32 v65, 0x3f737871, v11
	v_fmac_f32_e32 v7, 0xbf737871, v43
	v_fmac_f32_e32 v51, 0x3f167918, v52
	v_fmac_f32_e32 v55, 0x3e9e377a, v53
	v_fmac_f32_e32 v44, 0x3e9e377a, v41
	v_fmac_f32_e32 v46, 0x3f737871, v41
	v_fmac_f32_e32 v58, 0xbe9e377a, v2
	v_fmac_f32_e32 v60, 0x3f737871, v2
	v_fmac_f32_e32 v65, 0x3f167918, v5
	v_fmac_f32_e32 v7, 0xbf167918, v8
	v_fmac_f32_e32 v51, 0x3e9e377a, v47
	v_mul_f32_e32 v5, 0xbf167918, v55
	v_mul_f32_e32 v8, 0xbf4f1bbd, v55
	v_add_f32_e32 v1, v12, v44
	v_add_f32_e32 v3, v6, v58
	;; [unrolled: 1-line block ×4, first 2 shown]
	v_fmac_f32_e32 v65, 0x3e9e377a, v45
	v_fmac_f32_e32 v7, 0x3e9e377a, v9
	;; [unrolled: 1-line block ×4, first 2 shown]
	ds_write_b128 v73, v[1:4] offset:16
	v_sub_f32_e32 v3, v49, v67
	v_sub_f32_e32 v4, v50, v68
	v_add_f32_e32 v1, v65, v5
	v_add_f32_e32 v2, v7, v8
	ds_write_b128 v73, v[1:4] offset:32
	v_sub_f32_e32 v1, v69, v57
	v_sub_f32_e32 v3, v12, v44
	;; [unrolled: 1-line block ×4, first 2 shown]
	ds_write_b128 v73, v[1:4] offset:48
	v_sub_f32_e32 v2, v42, v60
	v_sub_f32_e32 v1, v6, v58
	;; [unrolled: 1-line block ×4, first 2 shown]
	ds_write_b128 v73, v[1:4] offset:64
	s_waitcnt lgkmcnt(0)
	s_barrier
	ds_read2st64_b64 v[1:4], v0 offset0:52 offset1:54
	buffer_load_dword v5, off, s[20:23], 0 offset:508 ; 4-byte Folded Reload
	buffer_load_dword v6, off, s[20:23], 0 offset:512 ; 4-byte Folded Reload
	s_waitcnt vmcnt(0) lgkmcnt(0)
	v_mul_f32_e32 v47, v6, v2
	v_fmac_f32_e32 v47, v5, v1
	v_mul_f32_e32 v1, v6, v1
	v_fma_f32 v48, v5, v2, -v1
	buffer_load_dword v5, off, s[20:23], 0 offset:524 ; 4-byte Folded Reload
	buffer_load_dword v6, off, s[20:23], 0 offset:528 ; 4-byte Folded Reload
	s_waitcnt vmcnt(0)
	v_mul_f32_e32 v2, v6, v4
	v_mul_f32_e32 v1, v6, v3
	v_fmac_f32_e32 v2, v5, v3
	v_fma_f32 v46, v5, v4, -v1
	ds_read2st64_b64 v[3:6], v0 offset0:56 offset1:58
	buffer_load_dword v7, off, s[20:23], 0 offset:532 ; 4-byte Folded Reload
	buffer_load_dword v8, off, s[20:23], 0 offset:536 ; 4-byte Folded Reload
	s_waitcnt vmcnt(0) lgkmcnt(0)
	v_mul_f32_e32 v44, v8, v4
	v_mul_f32_e32 v1, v8, v3
	v_fmac_f32_e32 v44, v7, v3
	v_fma_f32 v45, v7, v4, -v1
	buffer_load_dword v3, off, s[20:23], 0 offset:540 ; 4-byte Folded Reload
	buffer_load_dword v4, off, s[20:23], 0 offset:544 ; 4-byte Folded Reload
	s_waitcnt vmcnt(0)
	v_mul_f32_e32 v41, v4, v6
	v_mul_f32_e32 v1, v4, v5
	v_fmac_f32_e32 v41, v3, v5
	v_fma_f32 v42, v3, v6, -v1
	ds_read2st64_b64 v[3:6], v0 offset0:48 offset1:50
	buffer_load_dword v8, off, s[20:23], 0 offset:416 ; 4-byte Folded Reload
	buffer_load_dword v9, off, s[20:23], 0 offset:420 ; 4-byte Folded Reload
	s_waitcnt lgkmcnt(0)
	v_mul_f32_e32 v43, v40, v4
	v_fmac_f32_e32 v43, v39, v3
	s_waitcnt vmcnt(0)
	v_mul_f32_e32 v7, v9, v6
	v_mul_f32_e32 v1, v9, v5
	v_fmac_f32_e32 v7, v8, v5
	v_fma_f32 v8, v8, v6, -v1
	v_mul_f32_e32 v1, v40, v3
	v_fma_f32 v40, v39, v4, -v1
	ds_read2st64_b64 v[3:6], v0 offset0:36 offset1:38
	s_waitcnt lgkmcnt(0)
	v_mul_f32_e32 v39, v38, v6
	v_mul_f32_e32 v1, v38, v5
	v_fmac_f32_e32 v39, v37, v5
	v_fma_f32 v37, v37, v6, -v1
	v_mul_f32_e32 v38, v30, v4
	v_mul_f32_e32 v1, v30, v3
	v_fmac_f32_e32 v38, v29, v3
	v_fma_f32 v29, v29, v4, -v1
	ds_read2st64_b64 v[3:6], v0 offset0:44 offset1:46
	s_waitcnt lgkmcnt(0)
	v_mul_f32_e32 v30, v32, v6
	v_mul_f32_e32 v1, v32, v5
	v_fmac_f32_e32 v30, v31, v5
	v_fma_f32 v31, v31, v6, -v1
	v_mul_f32_e32 v32, v24, v4
	v_mul_f32_e32 v1, v24, v3
	v_fmac_f32_e32 v32, v23, v3
	;; [unrolled: 10-line block ×3, first 2 shown]
	v_fma_f32 v50, v13, v4, -v1
	ds_read2st64_b64 v[3:6], v0 offset0:40 offset1:42
	s_waitcnt lgkmcnt(0)
	v_mul_f32_e32 v1, v16, v5
	v_mul_f32_e32 v51, v16, v6
	v_fma_f32 v52, v15, v6, -v1
	v_mul_f32_e32 v24, v104, v4
	v_mul_f32_e32 v1, v104, v3
	v_fmac_f32_e32 v51, v15, v5
	v_fmac_f32_e32 v24, v103, v3
	v_fma_f32 v53, v103, v4, -v1
	ds_read2st64_b64 v[3:6], v0 offset0:28 offset1:30
	s_waitcnt lgkmcnt(0)
	v_mul_f32_e32 v1, v102, v5
	v_mul_f32_e32 v54, v102, v6
	v_fma_f32 v55, v101, v6, -v1
	v_mul_f32_e32 v11, v36, v4
	v_mul_f32_e32 v1, v36, v3
	v_fmac_f32_e32 v54, v101, v5
	v_fmac_f32_e32 v11, v35, v3
	v_fma_f32 v1, v35, v4, -v1
	ds_read2st64_b64 v[3:6], v0 offset0:16 offset1:18
	v_sub_f32_e32 v64, v55, v8
	s_waitcnt lgkmcnt(0)
	v_mul_f32_e32 v9, v34, v6
	v_mul_f32_e32 v12, v26, v4
	v_fmac_f32_e32 v9, v33, v5
	v_mul_f32_e32 v5, v34, v5
	v_fmac_f32_e32 v12, v25, v3
	v_mul_f32_e32 v3, v26, v3
	v_fma_f32 v10, v33, v6, -v5
	v_fma_f32 v13, v25, v4, -v3
	ds_read2st64_b64 v[3:6], v0 offset0:24 offset1:26
	s_waitcnt lgkmcnt(0)
	v_mul_f32_e32 v14, v28, v6
	v_fmac_f32_e32 v14, v27, v5
	v_mul_f32_e32 v5, v28, v5
	v_mul_f32_e32 v28, v20, v4
	v_fmac_f32_e32 v28, v19, v3
	v_mul_f32_e32 v3, v20, v3
	v_fma_f32 v15, v27, v6, -v5
	v_fma_f32 v20, v19, v4, -v3
	ds_read2st64_b64 v[3:6], v0 offset0:12 offset1:14
	s_waitcnt lgkmcnt(0)
	v_mul_f32_e32 v33, v18, v6
	v_mul_f32_e32 v35, v223, v4
	v_fmac_f32_e32 v33, v17, v5
	v_mul_f32_e32 v5, v18, v5
	v_fmac_f32_e32 v35, v222, v3
	v_mul_f32_e32 v3, v223, v3
	v_fma_f32 v34, v17, v6, -v5
	v_fma_f32 v36, v222, v4, -v3
	ds_read2st64_b64 v[3:6], v0 offset0:20 offset1:22
	ds_read2st64_b64 v[16:19], v0 offset1:2
	s_waitcnt lgkmcnt(1)
	v_mul_f32_e32 v56, v225, v6
	v_mul_f32_e32 v25, v181, v4
	v_fmac_f32_e32 v56, v224, v5
	v_mul_f32_e32 v5, v225, v5
	v_fmac_f32_e32 v25, v180, v3
	v_mul_f32_e32 v3, v181, v3
	v_fma_f32 v57, v224, v6, -v5
	v_fma_f32 v26, v180, v4, -v3
	ds_read2st64_b64 v[3:6], v0 offset0:8 offset1:10
	v_sub_f32_e32 v61, v26, v53
	v_sub_f32_e32 v62, v25, v24
	s_waitcnt lgkmcnt(0)
	v_mul_f32_e32 v58, v179, v6
	v_fmac_f32_e32 v58, v178, v5
	v_mul_f32_e32 v5, v179, v5
	v_fma_f32 v59, v178, v6, -v5
	v_add_f32_e32 v5, v17, v26
	v_add_f32_e32 v6, v16, v25
	;; [unrolled: 1-line block ×8, first 2 shown]
	v_fmac_f32_e32 v58, -0.5, v25
	v_add_f32_e32 v25, v59, v55
	v_add_f32_e32 v63, v25, v8
	;; [unrolled: 1-line block ×3, first 2 shown]
	v_fmac_f32_e32 v59, -0.5, v8
	v_add_f32_e32 v8, v24, v7
	v_sub_f32_e32 v7, v54, v7
	v_mov_b32_e32 v25, v59
	v_mov_b32_e32 v24, v58
	v_fmac_f32_e32 v25, 0x3f5db3d7, v7
	v_fmac_f32_e32 v24, 0xbf5db3d7, v64
	v_mul_f32_e32 v54, 0xbf5db3d7, v25
	v_mul_f32_e32 v55, 0.5, v25
	v_fmac_f32_e32 v54, 0.5, v24
	v_fmac_f32_e32 v55, 0x3f5db3d7, v24
	ds_read2st64_b64 v[24:27], v0 offset0:4 offset1:6
	s_waitcnt lgkmcnt(0)
	s_barrier
	buffer_load_dword v69, off, s[20:23], 0 offset:456 ; 4-byte Folded Reload
	v_fma_f32 v65, -0.5, v6, v16
	v_fma_f32 v67, -0.5, v5, v17
	v_mov_b32_e32 v66, v65
	v_mov_b32_e32 v68, v67
	v_fmac_f32_e32 v66, 0xbf5db3d7, v61
	v_fmac_f32_e32 v68, 0x3f5db3d7, v62
	v_add_f32_e32 v5, v53, v8
	v_add_f32_e32 v6, v60, v63
	;; [unrolled: 1-line block ×4, first 2 shown]
	v_fmac_f32_e32 v59, 0xbf5db3d7, v7
	v_fmac_f32_e32 v58, 0x3f5db3d7, v64
	v_mul_f32_e32 v7, 0xbf5db3d7, v59
	v_fmac_f32_e32 v65, 0x3f5db3d7, v61
	v_fmac_f32_e32 v67, 0xbf5db3d7, v62
	v_fmac_f32_e32 v7, -0.5, v58
	s_waitcnt vmcnt(0)
	ds_write2_b64 v69, v[5:6], v[16:17] offset1:10
	v_sub_f32_e32 v5, v53, v8
	v_mul_f32_e32 v8, -0.5, v59
	v_fmac_f32_e32 v8, 0x3f5db3d7, v58
	v_sub_f32_e32 v6, v60, v63
	v_add_f32_e32 v16, v65, v7
	v_add_f32_e32 v17, v67, v8
	ds_write2_b64 v69, v[16:17], v[5:6] offset0:20 offset1:30
	v_sub_f32_e32 v5, v66, v54
	v_sub_f32_e32 v6, v68, v55
	v_sub_f32_e32 v16, v65, v7
	v_sub_f32_e32 v17, v67, v8
	ds_write2_b64 v69, v[5:6], v[16:17] offset0:40 offset1:50
	v_add_f32_e32 v5, v19, v57
	v_add_f32_e32 v7, v5, v52
	v_sub_f32_e32 v8, v57, v52
	v_add_f32_e32 v5, v57, v52
	buffer_load_dword v57, off, s[20:23], 0 offset:344 ; 4-byte Folded Reload
	v_add_f32_e32 v16, v22, v47
	v_add_f32_e32 v6, v35, v22
	v_fmac_f32_e32 v35, -0.5, v16
	v_add_f32_e32 v16, v36, v50
	v_add_f32_e32 v53, v16, v48
	;; [unrolled: 1-line block ×3, first 2 shown]
	v_fmac_f32_e32 v19, -0.5, v5
	v_add_f32_e32 v5, v18, v56
	v_fmac_f32_e32 v36, -0.5, v16
	v_add_f32_e32 v52, v5, v51
	v_add_f32_e32 v5, v56, v51
	v_sub_f32_e32 v22, v22, v47
	v_mov_b32_e32 v16, v36
	v_sub_f32_e32 v54, v50, v48
	v_add_f32_e32 v48, v6, v47
	v_mov_b32_e32 v6, v35
	v_fmac_f32_e32 v16, 0x3f5db3d7, v22
	v_fma_f32 v18, -0.5, v5, v18
	v_sub_f32_e32 v51, v56, v51
	v_fmac_f32_e32 v6, 0xbf5db3d7, v54
	v_mul_f32_e32 v47, 0xbf5db3d7, v16
	v_mul_f32_e32 v50, 0.5, v16
	v_mov_b32_e32 v55, v18
	v_mov_b32_e32 v56, v19
	v_fmac_f32_e32 v47, 0.5, v6
	v_fmac_f32_e32 v50, 0x3f5db3d7, v6
	v_fmac_f32_e32 v55, 0xbf5db3d7, v8
	;; [unrolled: 1-line block ×3, first 2 shown]
	v_add_f32_e32 v5, v52, v48
	v_add_f32_e32 v6, v7, v53
	;; [unrolled: 1-line block ×4, first 2 shown]
	v_fmac_f32_e32 v36, 0xbf5db3d7, v22
	v_fmac_f32_e32 v18, 0x3f5db3d7, v8
	v_mul_f32_e32 v8, -0.5, v36
	v_fmac_f32_e32 v35, 0x3f5db3d7, v54
	v_fmac_f32_e32 v19, 0xbf5db3d7, v51
	;; [unrolled: 1-line block ×3, first 2 shown]
	v_sub_f32_e32 v22, v21, v46
	s_waitcnt vmcnt(0)
	ds_write2_b64 v57, v[5:6], v[16:17] offset1:10
	v_sub_f32_e32 v6, v7, v53
	v_mul_f32_e32 v7, 0xbf5db3d7, v36
	buffer_load_dword v36, off, s[20:23], 0 offset:252 ; 4-byte Folded Reload
	v_fmac_f32_e32 v7, -0.5, v35
	v_sub_f32_e32 v5, v52, v48
	v_add_f32_e32 v16, v18, v7
	v_add_f32_e32 v17, v19, v8
	ds_write2_b64 v57, v[16:17], v[5:6] offset0:20 offset1:30
	v_sub_f32_e32 v6, v19, v8
	v_sub_f32_e32 v5, v18, v7
	;; [unrolled: 1-line block ×4, first 2 shown]
	ds_write2_b64 v57, v[16:17], v[5:6] offset0:40 offset1:50
	v_add_f32_e32 v17, v23, v2
	v_add_f32_e32 v5, v25, v20
	;; [unrolled: 1-line block ×3, first 2 shown]
	v_fmac_f32_e32 v33, -0.5, v17
	v_add_f32_e32 v17, v34, v21
	v_add_f32_e32 v7, v5, v49
	v_sub_f32_e32 v8, v20, v49
	v_add_f32_e32 v5, v20, v49
	v_add_f32_e32 v20, v17, v46
	;; [unrolled: 1-line block ×4, first 2 shown]
	v_fmac_f32_e32 v34, -0.5, v17
	v_add_f32_e32 v18, v6, v32
	v_add_f32_e32 v6, v28, v32
	;; [unrolled: 1-line block ×3, first 2 shown]
	v_sub_f32_e32 v2, v23, v2
	v_mov_b32_e32 v17, v34
	v_mov_b32_e32 v16, v33
	v_fmac_f32_e32 v17, 0x3f5db3d7, v2
	v_fma_f32 v24, -0.5, v6, v24
	v_fma_f32 v25, -0.5, v5, v25
	v_sub_f32_e32 v19, v28, v32
	v_fmac_f32_e32 v16, 0xbf5db3d7, v22
	v_mul_f32_e32 v23, 0xbf5db3d7, v17
	v_mul_f32_e32 v28, 0.5, v17
	v_mov_b32_e32 v32, v24
	v_mov_b32_e32 v35, v25
	v_fmac_f32_e32 v23, 0.5, v16
	v_fmac_f32_e32 v28, 0x3f5db3d7, v16
	v_fmac_f32_e32 v32, 0xbf5db3d7, v8
	;; [unrolled: 1-line block ×3, first 2 shown]
	v_add_f32_e32 v5, v18, v21
	v_add_f32_e32 v6, v7, v20
	;; [unrolled: 1-line block ×4, first 2 shown]
	v_fmac_f32_e32 v34, 0xbf5db3d7, v2
	v_fmac_f32_e32 v33, 0x3f5db3d7, v22
	v_mul_f32_e32 v2, 0xbf5db3d7, v34
	v_fmac_f32_e32 v24, 0x3f5db3d7, v8
	v_fmac_f32_e32 v25, 0xbf5db3d7, v19
	v_fmac_f32_e32 v2, -0.5, v33
	s_waitcnt vmcnt(0)
	ds_write2_b64 v36, v[5:6], v[16:17] offset1:10
	v_sub_f32_e32 v6, v7, v20
	v_mul_f32_e32 v7, -0.5, v34
	v_fmac_f32_e32 v7, 0x3f5db3d7, v33
	v_sub_f32_e32 v5, v18, v21
	v_add_f32_e32 v16, v24, v2
	v_add_f32_e32 v17, v25, v7
	ds_write2_b64 v36, v[16:17], v[5:6] offset0:20 offset1:30
	v_sub_f32_e32 v5, v32, v23
	v_sub_f32_e32 v6, v35, v28
	;; [unrolled: 1-line block ×4, first 2 shown]
	ds_write2_b64 v36, v[5:6], v[16:17] offset0:40 offset1:50
	v_add_f32_e32 v5, v15, v31
	v_add_f32_e32 v2, v27, v15
	v_fmac_f32_e32 v27, -0.5, v5
	v_add_f32_e32 v5, v26, v14
	v_add_f32_e32 v8, v5, v30
	;; [unrolled: 1-line block ×3, first 2 shown]
	v_fma_f32 v23, -0.5, v5, v26
	buffer_load_dword v26, off, s[20:23], 0 offset:248 ; 4-byte Folded Reload
	v_sub_f32_e32 v16, v14, v30
	v_add_f32_e32 v14, v38, v44
	v_add_f32_e32 v6, v12, v38
	v_fmac_f32_e32 v12, -0.5, v14
	v_add_f32_e32 v14, v13, v29
	v_add_f32_e32 v17, v14, v45
	;; [unrolled: 1-line block ×3, first 2 shown]
	v_fmac_f32_e32 v13, -0.5, v14
	v_sub_f32_e32 v20, v38, v44
	v_mov_b32_e32 v14, v13
	v_sub_f32_e32 v18, v29, v45
	v_add_f32_e32 v19, v6, v44
	v_mov_b32_e32 v6, v12
	v_fmac_f32_e32 v14, 0x3f5db3d7, v20
	v_sub_f32_e32 v7, v15, v31
	v_fmac_f32_e32 v6, 0xbf5db3d7, v18
	v_mul_f32_e32 v21, 0xbf5db3d7, v14
	v_mul_f32_e32 v22, 0.5, v14
	v_mov_b32_e32 v24, v23
	v_mov_b32_e32 v25, v27
	v_add_f32_e32 v2, v2, v31
	v_fmac_f32_e32 v21, 0.5, v6
	v_fmac_f32_e32 v22, 0x3f5db3d7, v6
	v_fmac_f32_e32 v24, 0xbf5db3d7, v7
	;; [unrolled: 1-line block ×3, first 2 shown]
	v_add_f32_e32 v5, v8, v19
	v_add_f32_e32 v6, v2, v17
	;; [unrolled: 1-line block ×4, first 2 shown]
	v_fmac_f32_e32 v13, 0xbf5db3d7, v20
	v_fmac_f32_e32 v23, 0x3f5db3d7, v7
	;; [unrolled: 1-line block ×3, first 2 shown]
	v_mul_f32_e32 v7, -0.5, v13
	v_fmac_f32_e32 v27, 0xbf5db3d7, v16
	v_fmac_f32_e32 v7, 0x3f5db3d7, v12
	v_sub_f32_e32 v16, v39, v41
	s_waitcnt vmcnt(0)
	ds_write2_b64 v26, v[5:6], v[14:15] offset1:10
	v_sub_f32_e32 v6, v2, v17
	v_mul_f32_e32 v2, 0xbf5db3d7, v13
	v_fmac_f32_e32 v2, -0.5, v12
	v_sub_f32_e32 v5, v8, v19
	v_add_f32_e32 v12, v23, v2
	v_add_f32_e32 v13, v27, v7
	ds_write2_b64 v26, v[12:13], v[5:6] offset0:20 offset1:30
	v_sub_f32_e32 v6, v27, v7
	v_sub_f32_e32 v5, v23, v2
	;; [unrolled: 1-line block ×4, first 2 shown]
	ds_write2_b64 v26, v[12:13], v[5:6] offset0:40 offset1:50
	v_add_f32_e32 v2, v4, v1
	v_add_f32_e32 v5, v39, v41
	;; [unrolled: 1-line block ×4, first 2 shown]
	v_fmac_f32_e32 v9, -0.5, v5
	v_add_f32_e32 v5, v10, v37
	v_sub_f32_e32 v8, v1, v40
	v_add_f32_e32 v1, v1, v40
	v_add_f32_e32 v13, v5, v42
	;; [unrolled: 1-line block ×3, first 2 shown]
	v_fmac_f32_e32 v4, -0.5, v1
	v_add_f32_e32 v1, v3, v11
	v_fmac_f32_e32 v10, -0.5, v5
	v_add_f32_e32 v12, v1, v43
	v_add_f32_e32 v1, v11, v43
	v_mov_b32_e32 v5, v10
	v_sub_f32_e32 v14, v37, v42
	v_add_f32_e32 v15, v2, v41
	v_mov_b32_e32 v2, v9
	v_fmac_f32_e32 v5, 0x3f5db3d7, v16
	v_fma_f32 v3, -0.5, v1, v3
	v_sub_f32_e32 v11, v11, v43
	v_fmac_f32_e32 v2, 0xbf5db3d7, v14
	v_mul_f32_e32 v17, 0xbf5db3d7, v5
	v_mul_f32_e32 v18, 0.5, v5
	v_mov_b32_e32 v19, v3
	v_mov_b32_e32 v20, v4
	v_fmac_f32_e32 v17, 0.5, v2
	v_fmac_f32_e32 v18, 0x3f5db3d7, v2
	v_fmac_f32_e32 v19, 0xbf5db3d7, v8
	;; [unrolled: 1-line block ×3, first 2 shown]
	v_add_f32_e32 v1, v12, v15
	v_add_f32_e32 v2, v7, v13
	;; [unrolled: 1-line block ×4, first 2 shown]
	v_fmac_f32_e32 v10, 0xbf5db3d7, v16
	ds_write2_b64 v188, v[1:2], v[5:6] offset1:10
	v_sub_f32_e32 v2, v7, v13
	v_fmac_f32_e32 v3, 0x3f5db3d7, v8
	v_fmac_f32_e32 v9, 0x3f5db3d7, v14
	v_mul_f32_e32 v7, 0xbf5db3d7, v10
	v_mul_f32_e32 v8, -0.5, v10
	v_fmac_f32_e32 v4, 0xbf5db3d7, v11
	v_fmac_f32_e32 v7, -0.5, v9
	v_fmac_f32_e32 v8, 0x3f5db3d7, v9
	v_sub_f32_e32 v1, v12, v15
	v_add_f32_e32 v5, v3, v7
	v_add_f32_e32 v6, v4, v8
	ds_write2_b64 v188, v[5:6], v[1:2] offset0:20 offset1:30
	v_sub_f32_e32 v2, v4, v8
	v_sub_f32_e32 v1, v3, v7
	;; [unrolled: 1-line block ×4, first 2 shown]
	ds_write2_b64 v188, v[3:4], v[1:2] offset0:40 offset1:50
	s_waitcnt lgkmcnt(0)
	s_barrier
	ds_read2st64_b64 v[1:4], v0 offset0:32 offset1:34
	buffer_load_dword v5, off, s[20:23], 0 offset:336 ; 4-byte Folded Reload
	buffer_load_dword v6, off, s[20:23], 0 offset:340 ; 4-byte Folded Reload
	s_waitcnt vmcnt(0) lgkmcnt(0)
	v_mul_f32_e32 v7, v6, v2
	v_fmac_f32_e32 v7, v5, v1
	v_mul_f32_e32 v1, v6, v1
	v_fma_f32 v8, v5, v2, -v1
	buffer_load_dword v5, off, s[20:23], 0 offset:328 ; 4-byte Folded Reload
	buffer_load_dword v6, off, s[20:23], 0 offset:332 ; 4-byte Folded Reload
	s_waitcnt vmcnt(0)
	v_mul_f32_e32 v35, v6, v4
	v_mul_f32_e32 v1, v6, v3
	v_fmac_f32_e32 v35, v5, v3
	v_fma_f32 v36, v5, v4, -v1
	ds_read2st64_b64 v[1:4], v0 offset0:36 offset1:38
	buffer_load_dword v5, off, s[20:23], 0 offset:320 ; 4-byte Folded Reload
	buffer_load_dword v6, off, s[20:23], 0 offset:324 ; 4-byte Folded Reload
	s_waitcnt vmcnt(0) lgkmcnt(0)
	v_mul_f32_e32 v37, v6, v2
	v_fmac_f32_e32 v37, v5, v1
	v_mul_f32_e32 v1, v6, v1
	v_fma_f32 v38, v5, v2, -v1
	buffer_load_dword v5, off, s[20:23], 0 offset:312 ; 4-byte Folded Reload
	buffer_load_dword v6, off, s[20:23], 0 offset:316 ; 4-byte Folded Reload
	s_waitcnt vmcnt(0)
	v_mul_f32_e32 v39, v6, v4
	v_mul_f32_e32 v1, v6, v3
	v_fmac_f32_e32 v39, v5, v3
	v_fma_f32 v40, v5, v4, -v1
	;; [unrolled: 15-line block ×7, first 2 shown]
	ds_read2st64_b64 v[1:4], v0 offset0:28 offset1:30
	buffer_load_dword v5, off, s[20:23], 0 offset:400 ; 4-byte Folded Reload
	buffer_load_dword v6, off, s[20:23], 0 offset:404 ; 4-byte Folded Reload
	s_waitcnt vmcnt(0) lgkmcnt(0)
	v_mul_f32_e32 v9, v6, v4
	v_fmac_f32_e32 v9, v5, v3
	v_mul_f32_e32 v3, v6, v3
	v_fma_f32 v10, v5, v4, -v3
	ds_read2st64_b64 v[3:6], v0 offset1:2
	s_waitcnt lgkmcnt(0)
	v_sub_f32_e32 v33, v3, v9
	v_sub_f32_e32 v34, v4, v10
	ds_read2st64_b64 v[9:12], v0 offset0:4 offset1:6
	ds_read2st64_b64 v[13:16], v0 offset0:8 offset1:10
	ds_read2st64_b64 v[17:20], v0 offset0:12 offset1:14
	ds_read2st64_b64 v[21:24], v0 offset0:16 offset1:18
	ds_read2st64_b64 v[25:28], v0 offset0:20 offset1:22
	ds_read2st64_b64 v[29:32], v0 offset0:24 offset1:26
	s_waitcnt lgkmcnt(0)
	s_barrier
	buffer_load_dword v61, off, s[20:23], 0 offset:448 ; 4-byte Folded Reload
	v_fma_f32 v3, v3, 2.0, -v33
	v_fma_f32 v4, v4, 2.0, -v34
	s_waitcnt vmcnt(0)
	ds_write2_b64 v61, v[3:4], v[33:34] offset1:60
	v_sub_f32_e32 v3, v5, v7
	buffer_load_dword v7, off, s[20:23], 0 offset:444 ; 4-byte Folded Reload
	v_sub_f32_e32 v4, v6, v8
	v_fma_f32 v5, v5, 2.0, -v3
	v_fma_f32 v6, v6, 2.0, -v4
	s_waitcnt vmcnt(0)
	ds_write2_b64 v7, v[5:6], v[3:4] offset1:60
	buffer_load_dword v7, off, s[20:23], 0 offset:440 ; 4-byte Folded Reload
	v_sub_f32_e32 v3, v9, v35
	v_sub_f32_e32 v4, v10, v36
	v_fma_f32 v5, v9, 2.0, -v3
	v_fma_f32 v6, v10, 2.0, -v4
	s_waitcnt vmcnt(0)
	ds_write2_b64 v7, v[5:6], v[3:4] offset1:60
	buffer_load_dword v7, off, s[20:23], 0 offset:436 ; 4-byte Folded Reload
	v_sub_f32_e32 v3, v11, v37
	;; [unrolled: 7-line block ×13, first 2 shown]
	v_sub_f32_e32 v4, v2, v60
	v_fma_f32 v1, v1, 2.0, -v3
	v_fma_f32 v2, v2, 2.0, -v4
	s_waitcnt vmcnt(0)
	ds_write2_b64 v5, v[1:2], v[3:4] offset1:60
	s_waitcnt lgkmcnt(0)
	s_barrier
	ds_read2st64_b64 v[1:4], v0 offset0:32 offset1:34
	buffer_load_dword v5, off, s[20:23], 0 offset:476 ; 4-byte Folded Reload
	buffer_load_dword v6, off, s[20:23], 0 offset:480 ; 4-byte Folded Reload
	s_waitcnt vmcnt(0) lgkmcnt(0)
	v_mul_f32_e32 v33, v6, v2
	v_fmac_f32_e32 v33, v5, v1
	v_mul_f32_e32 v1, v6, v1
	v_fma_f32 v34, v5, v2, -v1
	buffer_load_dword v5, off, s[20:23], 0 offset:460 ; 4-byte Folded Reload
	buffer_load_dword v6, off, s[20:23], 0 offset:464 ; 4-byte Folded Reload
	s_waitcnt vmcnt(0)
	v_mul_f32_e32 v35, v6, v4
	v_mul_f32_e32 v1, v6, v3
	v_fmac_f32_e32 v35, v5, v3
	v_fma_f32 v36, v5, v4, -v1
	ds_read2st64_b64 v[1:4], v0 offset0:36 offset1:38
	buffer_load_dword v5, off, s[20:23], 0 offset:468 ; 4-byte Folded Reload
	buffer_load_dword v6, off, s[20:23], 0 offset:472 ; 4-byte Folded Reload
	s_waitcnt vmcnt(0) lgkmcnt(0)
	v_mul_f32_e32 v37, v6, v2
	v_fmac_f32_e32 v37, v5, v1
	v_mul_f32_e32 v1, v6, v1
	v_fma_f32 v38, v5, v2, -v1
	buffer_load_dword v5, off, s[20:23], 0 offset:484 ; 4-byte Folded Reload
	buffer_load_dword v6, off, s[20:23], 0 offset:488 ; 4-byte Folded Reload
	s_waitcnt vmcnt(0)
	v_mul_f32_e32 v39, v6, v4
	v_mul_f32_e32 v1, v6, v3
	v_fmac_f32_e32 v39, v5, v3
	v_fma_f32 v40, v5, v4, -v1
	;; [unrolled: 15-line block ×7, first 2 shown]
	ds_read2st64_b64 v[1:4], v0 offset0:28 offset1:30
	s_waitcnt lgkmcnt(0)
	v_mul_f32_e32 v7, v237, v4
	v_fmac_f32_e32 v7, v236, v3
	v_mul_f32_e32 v3, v237, v3
	v_fma_f32 v8, v236, v4, -v3
	ds_read2st64_b64 v[3:6], v0 offset1:2
	s_waitcnt lgkmcnt(0)
	v_sub_f32_e32 v31, v3, v7
	v_sub_f32_e32 v32, v4, v8
	ds_read2st64_b64 v[7:10], v0 offset0:4 offset1:6
	ds_read2st64_b64 v[11:14], v0 offset0:8 offset1:10
	;; [unrolled: 1-line block ×6, first 2 shown]
	s_waitcnt lgkmcnt(0)
	s_barrier
	buffer_load_dword v61, off, s[20:23], 0 offset:672 ; 4-byte Folded Reload
	v_fma_f32 v3, v3, 2.0, -v31
	v_fma_f32 v4, v4, 2.0, -v32
	s_waitcnt vmcnt(0)
	ds_write2_b64 v61, v[3:4], v[31:32] offset1:120
	buffer_load_dword v31, off, s[20:23], 0 offset:668 ; 4-byte Folded Reload
	v_sub_f32_e32 v3, v5, v33
	v_sub_f32_e32 v4, v6, v34
	v_fma_f32 v5, v5, 2.0, -v3
	v_fma_f32 v6, v6, 2.0, -v4
	buffer_load_dword v33, off, s[20:23], 0 offset:608 ; 4-byte Folded Reload
	v_sub_f32_e32 v32, v2, v60
	v_fma_f32 v2, v2, 2.0, -v32
	s_waitcnt vmcnt(1)
	ds_write2_b64 v31, v[5:6], v[3:4] offset1:120
	v_sub_f32_e32 v3, v7, v35
	v_fma_f32 v5, v7, 2.0, -v3
	buffer_load_dword v7, off, s[20:23], 0 offset:664 ; 4-byte Folded Reload
	v_sub_f32_e32 v4, v8, v36
	v_fma_f32 v6, v8, 2.0, -v4
	v_sub_f32_e32 v8, v20, v48
	v_sub_f32_e32 v31, v1, v59
	v_fma_f32 v1, v1, 2.0, -v31
	s_waitcnt vmcnt(0)
	ds_write2_b64 v7, v[5:6], v[3:4] offset1:120
	buffer_load_dword v7, off, s[20:23], 0 offset:660 ; 4-byte Folded Reload
	v_sub_f32_e32 v3, v9, v37
	v_sub_f32_e32 v4, v10, v38
	v_fma_f32 v5, v9, 2.0, -v3
	v_fma_f32 v6, v10, 2.0, -v4
	v_sub_f32_e32 v9, v21, v49
	v_sub_f32_e32 v10, v22, v50
	s_waitcnt vmcnt(0)
	ds_write2_b64 v7, v[5:6], v[3:4] offset1:120
	buffer_load_dword v7, off, s[20:23], 0 offset:656 ; 4-byte Folded Reload
	v_sub_f32_e32 v3, v11, v39
	v_sub_f32_e32 v4, v12, v40
	v_fma_f32 v5, v11, 2.0, -v3
	v_fma_f32 v6, v12, 2.0, -v4
	;; [unrolled: 1-line block ×3, first 2 shown]
	s_waitcnt vmcnt(0)
	ds_write2_b64 v7, v[5:6], v[3:4] offset1:120
	buffer_load_dword v7, off, s[20:23], 0 offset:652 ; 4-byte Folded Reload
	v_sub_f32_e32 v3, v13, v41
	v_sub_f32_e32 v4, v14, v42
	v_fma_f32 v5, v13, 2.0, -v3
	v_fma_f32 v6, v14, 2.0, -v4
	;; [unrolled: 1-line block ×4, first 2 shown]
	s_waitcnt vmcnt(0)
	ds_write2_b64 v7, v[5:6], v[3:4] offset1:120
	buffer_load_dword v7, off, s[20:23], 0 offset:712 ; 4-byte Folded Reload
	v_sub_f32_e32 v3, v15, v43
	v_sub_f32_e32 v4, v16, v44
	v_fma_f32 v5, v15, 2.0, -v3
	v_fma_f32 v6, v16, 2.0, -v4
	v_sub_f32_e32 v15, v23, v51
	v_sub_f32_e32 v16, v24, v52
	v_fma_f32 v20, v24, 2.0, -v16
	v_sub_f32_e32 v24, v28, v56
	v_fma_f32 v28, v28, 2.0, -v24
	s_waitcnt vmcnt(0)
	ds_write2_b64 v7, v[5:6], v[3:4] offset1:120
	v_sub_f32_e32 v3, v17, v45
	v_sub_f32_e32 v4, v18, v46
	v_fma_f32 v5, v17, 2.0, -v3
	v_fma_f32 v6, v18, 2.0, -v4
	ds_write2_b64 v33, v[5:6], v[3:4] offset1:120
	buffer_load_dword v72, off, s[20:23], 0 offset:240 ; 4-byte Folded Reload
	buffer_load_dword v73, off, s[20:23], 0 offset:244 ; 4-byte Folded Reload
	;; [unrolled: 1-line block ×3, first 2 shown]
	v_sub_f32_e32 v7, v19, v47
	v_fma_f32 v11, v19, 2.0, -v7
	v_fma_f32 v19, v23, 2.0, -v15
	v_sub_f32_e32 v17, v25, v53
	v_sub_f32_e32 v18, v26, v54
	v_fma_f32 v21, v25, 2.0, -v17
	v_fma_f32 v22, v26, 2.0, -v18
	v_sub_f32_e32 v23, v27, v55
	v_fma_f32 v27, v27, 2.0, -v23
	v_sub_f32_e32 v25, v29, v57
	v_sub_f32_e32 v26, v30, v58
	v_fma_f32 v29, v29, 2.0, -v25
	v_fma_f32 v30, v30, 2.0, -v26
	s_waitcnt vmcnt(2)
	v_mad_u64_u32 v[4:5], s[6:7], s2, v72, 0
	s_waitcnt vmcnt(0)
	ds_write2_b64 v3, v[11:12], v[7:8] offset1:120
	buffer_load_dword v3, off, s[20:23], 0 offset:696 ; 4-byte Folded Reload
	s_waitcnt vmcnt(0)
	ds_write2_b64 v3, v[13:14], v[9:10] offset1:120
	buffer_load_dword v3, off, s[20:23], 0 offset:556 ; 4-byte Folded Reload
	;; [unrolled: 3-line block ×6, first 2 shown]
	s_waitcnt vmcnt(0)
	ds_write2_b64 v3, v[1:2], v[31:32] offset1:120
	s_waitcnt lgkmcnt(0)
	s_barrier
	ds_read2st64_b64 v[6:9], v0 offset1:2
	ds_read2st64_b64 v[10:13], v0 offset0:28 offset1:30
	ds_read2st64_b64 v[14:17], v0 offset0:32 offset1:34
	;; [unrolled: 1-line block ×8, first 2 shown]
	buffer_load_dword v42, off, s[20:23], 0 offset:636 ; 4-byte Folded Reload
	buffer_load_dword v43, off, s[20:23], 0 offset:640 ; 4-byte Folded Reload
	s_waitcnt lgkmcnt(7)
	v_mul_f32_e32 v2, v221, v12
	v_fma_f32 v2, v220, v13, -v2
	v_sub_f32_e32 v2, v7, v2
	s_waitcnt lgkmcnt(0)
	v_mul_f32_e32 v53, v239, v39
	v_mul_f32_e32 v55, v253, v41
	v_fmac_f32_e32 v53, v238, v38
	v_fmac_f32_e32 v55, v252, v40
	v_mul_f32_e32 v49, v241, v31
	v_mul_f32_e32 v51, v243, v33
	v_fma_f32 v7, v7, 2.0, -v2
	v_fmac_f32_e32 v49, v240, v30
	v_fmac_f32_e32 v51, v242, v32
	s_waitcnt vmcnt(0)
	v_mul_f32_e32 v3, v43, v15
	v_mul_f32_e32 v1, v43, v14
	v_fmac_f32_e32 v3, v42, v14
	v_fma_f32 v42, v42, v15, -v1
	buffer_load_dword v14, off, s[20:23], 0 offset:644 ; 4-byte Folded Reload
	buffer_load_dword v15, off, s[20:23], 0 offset:648 ; 4-byte Folded Reload
	s_waitcnt vmcnt(0)
	v_mul_f32_e32 v43, v15, v17
	v_mul_f32_e32 v1, v15, v16
	v_fmac_f32_e32 v43, v14, v16
	v_fma_f32 v44, v14, v17, -v1
	ds_read2st64_b64 v[14:17], v0 offset0:16 offset1:18
	buffer_load_dword v46, off, s[20:23], 0 offset:676 ; 4-byte Folded Reload
	buffer_load_dword v47, off, s[20:23], 0 offset:680 ; 4-byte Folded Reload
	s_waitcnt vmcnt(0)
	v_mul_f32_e32 v45, v47, v23
	v_mul_f32_e32 v1, v47, v22
	v_fmac_f32_e32 v45, v46, v22
	v_fma_f32 v46, v46, v23, -v1
	v_mul_f32_e32 v1, v245, v24
	v_fma_f32 v48, v244, v25, -v1
	v_mul_f32_e32 v1, v241, v30
	v_mul_f32_e32 v47, v245, v25
	v_fma_f32 v50, v240, v31, -v1
	v_mul_f32_e32 v1, v243, v32
	v_fmac_f32_e32 v47, v244, v24
	ds_read2st64_b64 v[22:25], v0 offset0:48 offset1:50
	v_fma_f32 v52, v242, v33, -v1
	v_mul_f32_e32 v1, v239, v38
	v_fma_f32 v54, v238, v39, -v1
	v_mul_f32_e32 v1, v253, v40
	v_fma_f32 v56, v252, v41, -v1
	ds_read2st64_b64 v[38:41], v0 offset0:52 offset1:54
	s_waitcnt lgkmcnt(1)
	v_mul_f32_e32 v1, v249, v22
	v_fma_f32 v58, v248, v23, -v1
	v_mul_f32_e32 v1, v251, v24
	v_fma_f32 v60, v250, v25, -v1
	s_waitcnt lgkmcnt(0)
	v_mul_f32_e32 v1, v247, v38
	v_fma_f32 v62, v246, v39, -v1
	v_mul_f32_e32 v1, v227, v40
	v_fma_f32 v64, v226, v41, -v1
	v_mul_f32_e32 v1, v221, v13
	v_fmac_f32_e32 v1, v220, v12
	v_sub_f32_e32 v1, v6, v1
	v_mul_f32_e32 v57, v249, v23
	v_mul_f32_e32 v59, v251, v25
	;; [unrolled: 1-line block ×4, first 2 shown]
	v_fma_f32 v6, v6, 2.0, -v1
	ds_read2st64_b64 v[30:33], v0 offset0:20 offset1:22
	v_fmac_f32_e32 v57, v248, v22
	v_fmac_f32_e32 v59, v250, v24
	ds_read2st64_b64 v[22:25], v0 offset0:24 offset1:26
	v_fmac_f32_e32 v61, v246, v38
	v_fmac_f32_e32 v63, v226, v40
	ds_read2st64_b64 v[38:41], v0 offset0:56 offset1:58
	s_waitcnt lgkmcnt(0)
	s_barrier
	ds_write2_b64 v0, v[6:7], v[1:2] offset1:240
	buffer_load_dword v1, off, s[20:23], 0 offset:684 ; 4-byte Folded Reload
	v_mul_f32_e32 v12, v255, v38
	v_fma_f32 v66, v254, v39, -v12
	v_mul_f32_e32 v12, v229, v40
	v_mul_f32_e32 v65, v255, v39
	v_fma_f32 v68, v228, v41, -v12
	v_sub_f32_e32 v12, v8, v3
	v_sub_f32_e32 v13, v9, v42
	v_fmac_f32_e32 v65, v254, v38
	v_fma_f32 v8, v8, 2.0, -v12
	v_fma_f32 v9, v9, 2.0, -v13
	v_sub_f32_e32 v38, v18, v43
	v_sub_f32_e32 v39, v19, v44
	v_fma_f32 v18, v18, 2.0, -v38
	v_fma_f32 v19, v19, 2.0, -v39
	v_mul_f32_e32 v67, v229, v41
	v_fmac_f32_e32 v67, v228, v40
	v_sub_f32_e32 v40, v20, v45
	v_sub_f32_e32 v41, v21, v46
	v_fma_f32 v20, v20, 2.0, -v40
	v_fma_f32 v21, v21, 2.0, -v41
	v_sub_f32_e32 v42, v26, v47
	v_sub_f32_e32 v43, v27, v48
	v_fma_f32 v26, v26, 2.0, -v42
	v_fma_f32 v27, v27, 2.0, -v43
	;; [unrolled: 4-line block ×12, first 2 shown]
	s_waitcnt vmcnt(0)
	ds_write2_b64 v1, v[8:9], v[12:13] offset1:240
	v_add_u32_e32 v1, 0xf80, v0
	ds_write2_b64 v1, v[18:19], v[38:39] offset1:240
	buffer_load_dword v1, off, s[20:23], 0 offset:688 ; 4-byte Folded Reload
	s_waitcnt vmcnt(0)
	ds_write2_b64 v1, v[20:21], v[40:41] offset1:240
	buffer_load_dword v1, off, s[20:23], 0 offset:692 ; 4-byte Folded Reload
	s_waitcnt vmcnt(0)
	;; [unrolled: 3-line block ×12, first 2 shown]
	ds_write2_b64 v1, v[10:11], v[62:63] offset1:240
	s_waitcnt lgkmcnt(0)
	s_barrier
	ds_read2st64_b64 v[6:9], v0 offset1:2
	ds_read2st64_b64 v[10:13], v0 offset0:28 offset1:30
	ds_read2st64_b64 v[14:17], v0 offset0:32 offset1:34
	;; [unrolled: 1-line block ×14, first 2 shown]
	s_waitcnt lgkmcnt(13)
	v_mul_f32_e32 v1, v164, v13
	v_fmac_f32_e32 v1, v163, v12
	v_mul_f32_e32 v2, v164, v12
	s_waitcnt lgkmcnt(12)
	v_mul_f32_e32 v12, v205, v14
	v_fma_f32 v2, v163, v13, -v2
	v_fma_f32 v13, v204, v15, -v12
	v_mul_f32_e32 v12, v199, v16
	v_mul_f32_e32 v3, v205, v15
	v_fma_f32 v15, v198, v17, -v12
	s_waitcnt lgkmcnt(10)
	v_mul_f32_e32 v66, v187, v23
	v_mul_f32_e32 v12, v187, v22
	v_fmac_f32_e32 v66, v186, v22
	v_fma_f32 v22, v186, v23, -v12
	v_mul_f32_e32 v23, v215, v25
	v_mul_f32_e32 v12, v215, v24
	v_fmac_f32_e32 v23, v214, v24
	v_fma_f32 v24, v214, v25, -v12
	s_waitcnt lgkmcnt(8)
	v_mul_f32_e32 v67, v219, v31
	v_mul_f32_e32 v12, v219, v30
	v_fmac_f32_e32 v67, v218, v30
	v_fma_f32 v30, v218, v31, -v12
	v_mul_f32_e32 v31, v201, v33
	v_mul_f32_e32 v12, v201, v32
	v_fmac_f32_e32 v31, v200, v32
	;; [unrolled: 9-line block ×5, first 2 shown]
	v_mul_f32_e32 v14, v199, v17
	v_fmac_f32_e32 v55, v171, v56
	v_fma_f32 v56, v171, v57, -v12
	s_waitcnt lgkmcnt(0)
	v_mul_f32_e32 v71, v174, v63
	v_mul_f32_e32 v12, v174, v62
	v_fmac_f32_e32 v14, v198, v16
	v_fmac_f32_e32 v71, v173, v62
	v_fma_f32 v62, v173, v63, -v12
	v_mul_f32_e32 v63, v176, v65
	v_mul_f32_e32 v12, v176, v64
	v_fmac_f32_e32 v63, v175, v64
	v_fma_f32 v64, v175, v65, -v12
	v_sub_f32_e32 v1, v6, v1
	v_sub_f32_e32 v2, v7, v2
	v_sub_f32_e32 v12, v8, v3
	v_sub_f32_e32 v13, v9, v13
	v_sub_f32_e32 v14, v18, v14
	v_sub_f32_e32 v15, v19, v15
	v_fma_f32 v6, v6, 2.0, -v1
	v_fma_f32 v7, v7, 2.0, -v2
	;; [unrolled: 1-line block ×6, first 2 shown]
	v_add_u32_e32 v3, 0x800, v0
	s_barrier
	ds_write2st64_b64 v0, v[6:7], v[8:9] offset1:2
	ds_write2_b64 v3, v[16:17], v[1:2] offset1:224
	ds_write2st64_b64 v177, v[12:13], v[14:15] offset0:9 offset1:11
	buffer_load_dword v1, off, s[20:23], 0 offset:744 ; 4-byte Folded Reload
	v_sub_f32_e32 v18, v20, v66
	v_sub_f32_e32 v19, v21, v22
	;; [unrolled: 1-line block ×4, first 2 shown]
	v_fma_f32 v20, v20, 2.0, -v18
	v_fma_f32 v21, v21, 2.0, -v19
	;; [unrolled: 1-line block ×4, first 2 shown]
	v_sub_f32_e32 v26, v28, v67
	v_sub_f32_e32 v27, v29, v30
	;; [unrolled: 1-line block ×4, first 2 shown]
	v_fma_f32 v28, v28, 2.0, -v26
	v_fma_f32 v29, v29, 2.0, -v27
	;; [unrolled: 1-line block ×4, first 2 shown]
	s_waitcnt vmcnt(0)
	ds_write_b64 v1, v[20:21]
	ds_write_b64 v1, v[18:19] offset:3840
	ds_write2st64_b64 v177, v[24:25], v[28:29] offset0:15 offset1:17
	v_add_u32_e32 v1, 0x2700, v0
	ds_write2_b64 v1, v[32:33], v[22:23] offset1:224
	ds_write2st64_b64 v0, v[26:27], v[30:31] offset0:25 offset1:27
	buffer_load_dword v1, off, s[20:23], 0 offset:760 ; 4-byte Folded Reload
	v_sub_f32_e32 v34, v36, v68
	v_sub_f32_e32 v35, v37, v38
	v_fma_f32 v36, v36, 2.0, -v34
	v_fma_f32 v37, v37, 2.0, -v35
	s_waitcnt vmcnt(0)
	ds_write_b64 v1, v[36:37]
	ds_write_b64 v1, v[34:35] offset:3840
	buffer_load_dword v1, off, s[20:23], 0 offset:756 ; 4-byte Folded Reload
	v_sub_f32_e32 v38, v42, v39
	v_sub_f32_e32 v39, v43, v40
	v_fma_f32 v40, v42, 2.0, -v38
	v_fma_f32 v41, v43, 2.0, -v39
	s_waitcnt vmcnt(0)
	ds_write_b64 v1, v[40:41] offset:15360
	ds_write_b64 v1, v[38:39] offset:19200
	buffer_load_dword v1, off, s[20:23], 0 offset:752 ; 4-byte Folded Reload
	v_sub_f32_e32 v42, v44, v69
	v_sub_f32_e32 v43, v45, v46
	v_fma_f32 v44, v44, 2.0, -v42
	v_fma_f32 v45, v45, 2.0, -v43
	s_waitcnt vmcnt(0)
	ds_write_b64 v1, v[44:45] offset:15360
	;; [unrolled: 8-line block ×3, first 2 shown]
	ds_write_b64 v1, v[46:47] offset:19200
	buffer_load_dword v1, off, s[20:23], 0 offset:772 ; 4-byte Folded Reload
	v_sub_f32_e32 v50, v52, v70
	v_sub_f32_e32 v51, v53, v54
	v_fma_f32 v52, v52, 2.0, -v50
	v_fma_f32 v53, v53, 2.0, -v51
	s_waitcnt vmcnt(0)
	ds_write_b64 v1, v[52:53]
	ds_write_b64 v1, v[50:51] offset:3840
	buffer_load_dword v1, off, s[20:23], 0 offset:768 ; 4-byte Folded Reload
	v_sub_f32_e32 v54, v58, v55
	v_sub_f32_e32 v55, v59, v56
	v_fma_f32 v56, v58, 2.0, -v54
	v_fma_f32 v57, v59, 2.0, -v55
	v_sub_f32_e32 v58, v60, v71
	v_sub_f32_e32 v59, v61, v62
	v_fma_f32 v60, v60, 2.0, -v58
	v_fma_f32 v61, v61, 2.0, -v59
	s_waitcnt vmcnt(0)
	ds_write_b64 v1, v[56:57] offset:23040
	ds_write_b64 v1, v[54:55] offset:26880
	;; [unrolled: 1-line block ×4, first 2 shown]
	buffer_load_dword v1, off, s[20:23], 0 offset:764 ; 4-byte Folded Reload
	v_sub_f32_e32 v62, v10, v63
	v_sub_f32_e32 v63, v11, v64
	v_fma_f32 v10, v10, 2.0, -v62
	v_fma_f32 v11, v11, 2.0, -v63
	s_waitcnt vmcnt(0)
	ds_write_b64 v1, v[10:11] offset:23040
	ds_write_b64 v1, v[62:63] offset:26880
	s_waitcnt lgkmcnt(0)
	s_barrier
	ds_read2st64_b64 v[6:9], v0 offset1:2
	ds_read2st64_b64 v[10:13], v0 offset0:28 offset1:30
	ds_read2st64_b64 v[14:17], v0 offset0:32 offset1:34
	;; [unrolled: 1-line block ×14, first 2 shown]
	s_waitcnt lgkmcnt(13)
	v_mul_f32_e32 v1, v125, v13
	v_fmac_f32_e32 v1, v124, v12
	v_mul_f32_e32 v2, v125, v12
	s_waitcnt lgkmcnt(12)
	v_mul_f32_e32 v12, v166, v14
	v_fma_f32 v2, v124, v13, -v2
	v_fma_f32 v13, v165, v15, -v12
	v_mul_f32_e32 v12, v154, v16
	v_mul_f32_e32 v3, v166, v15
	v_fma_f32 v15, v153, v17, -v12
	s_waitcnt lgkmcnt(10)
	v_mul_f32_e32 v66, v150, v23
	v_mul_f32_e32 v12, v150, v22
	v_fmac_f32_e32 v66, v149, v22
	v_fma_f32 v22, v149, v23, -v12
	v_mul_f32_e32 v23, v148, v25
	v_mul_f32_e32 v12, v148, v24
	v_fmac_f32_e32 v23, v147, v24
	v_fma_f32 v24, v147, v25, -v12
	s_waitcnt lgkmcnt(8)
	v_mul_f32_e32 v67, v146, v31
	v_mul_f32_e32 v12, v146, v30
	v_fmac_f32_e32 v67, v145, v30
	v_fma_f32 v30, v145, v31, -v12
	v_mul_f32_e32 v31, v144, v33
	v_mul_f32_e32 v12, v144, v32
	v_fmac_f32_e32 v31, v143, v32
	;; [unrolled: 9-line block ×5, first 2 shown]
	v_mul_f32_e32 v14, v154, v17
	v_fmac_f32_e32 v55, v155, v56
	v_fma_f32 v56, v155, v57, -v12
	s_waitcnt lgkmcnt(0)
	v_mul_f32_e32 v71, v158, v63
	v_mul_f32_e32 v12, v158, v62
	v_fmac_f32_e32 v14, v153, v16
	v_fmac_f32_e32 v71, v157, v62
	v_fma_f32 v62, v157, v63, -v12
	v_mul_f32_e32 v63, v152, v65
	v_mul_f32_e32 v12, v152, v64
	v_sub_f32_e32 v15, v19, v15
	v_fmac_f32_e32 v63, v151, v64
	v_fma_f32 v64, v151, v65, -v12
	v_sub_f32_e32 v1, v6, v1
	v_sub_f32_e32 v2, v7, v2
	;; [unrolled: 1-line block ×5, first 2 shown]
	v_fma_f32 v17, v19, 2.0, -v15
	v_sub_f32_e32 v19, v21, v22
	v_sub_f32_e32 v22, v26, v23
	;; [unrolled: 1-line block ×3, first 2 shown]
	v_fma_f32 v6, v6, 2.0, -v1
	v_fma_f32 v7, v7, 2.0, -v2
	;; [unrolled: 1-line block ×5, first 2 shown]
	v_sub_f32_e32 v18, v20, v66
	v_fma_f32 v24, v26, 2.0, -v22
	v_fma_f32 v25, v27, 2.0, -v23
	v_sub_f32_e32 v26, v28, v67
	v_sub_f32_e32 v27, v29, v30
	;; [unrolled: 1-line block ×4, first 2 shown]
	v_fma_f32 v20, v20, 2.0, -v18
	v_fma_f32 v21, v21, 2.0, -v19
	;; [unrolled: 1-line block ×6, first 2 shown]
	s_barrier
	ds_write2st64_b64 v0, v[6:7], v[8:9] offset1:2
	ds_write2st64_b64 v0, v[12:13], v[14:15] offset0:17 offset1:19
	ds_write2st64_b64 v0, v[16:17], v[20:21] offset0:4 offset1:6
	;; [unrolled: 1-line block ×6, first 2 shown]
	buffer_load_dword v1, off, s[20:23], 0 offset:776 ; 4-byte Folded Reload
	v_sub_f32_e32 v35, v37, v38
	v_sub_f32_e32 v38, v42, v39
	;; [unrolled: 1-line block ×3, first 2 shown]
	v_fma_f32 v41, v43, 2.0, -v39
	v_sub_f32_e32 v43, v45, v46
	v_sub_f32_e32 v46, v50, v47
	;; [unrolled: 1-line block ×3, first 2 shown]
	v_fma_f32 v49, v51, 2.0, -v47
	v_sub_f32_e32 v51, v53, v54
	v_sub_f32_e32 v54, v58, v55
	;; [unrolled: 1-line block ×4, first 2 shown]
	v_fma_f32 v40, v42, 2.0, -v38
	v_sub_f32_e32 v42, v44, v69
	v_fma_f32 v48, v50, 2.0, -v46
	v_sub_f32_e32 v50, v52, v70
	v_fma_f32 v56, v58, 2.0, -v54
	v_fma_f32 v57, v59, 2.0, -v55
	v_sub_f32_e32 v58, v60, v71
	v_sub_f32_e32 v59, v61, v62
	;; [unrolled: 1-line block ×4, first 2 shown]
	v_fma_f32 v36, v36, 2.0, -v34
	v_fma_f32 v37, v37, 2.0, -v35
	;; [unrolled: 1-line block ×10, first 2 shown]
	s_waitcnt vmcnt(0)
	ds_write2st64_b64 v1, v[36:37], v[34:35] offset1:15
	ds_write2st64_b64 v0, v[40:41], v[44:45] offset0:31 offset1:33
	ds_write2st64_b64 v0, v[42:43], v[46:47] offset0:48 offset1:50
	;; [unrolled: 1-line block ×7, first 2 shown]
	s_waitcnt lgkmcnt(0)
	s_barrier
	ds_read2st64_b64 v[6:9], v0 offset1:2
	ds_read2st64_b64 v[10:13], v0 offset0:28 offset1:30
	ds_read2st64_b64 v[14:17], v0 offset0:32 offset1:34
	;; [unrolled: 1-line block ×14, first 2 shown]
	s_waitcnt lgkmcnt(13)
	v_mul_f32_e32 v1, v109, v13
	v_fmac_f32_e32 v1, v108, v12
	v_mul_f32_e32 v2, v109, v12
	s_waitcnt lgkmcnt(12)
	v_mul_f32_e32 v12, v136, v14
	v_fma_f32 v2, v108, v13, -v2
	v_fma_f32 v13, v135, v15, -v12
	v_mul_f32_e32 v12, v138, v16
	v_mul_f32_e32 v3, v136, v15
	v_fma_f32 v15, v137, v17, -v12
	s_waitcnt lgkmcnt(10)
	v_mul_f32_e32 v66, v140, v23
	v_mul_f32_e32 v12, v140, v22
	v_fmac_f32_e32 v66, v139, v22
	v_fma_f32 v22, v139, v23, -v12
	v_mul_f32_e32 v23, v127, v25
	v_mul_f32_e32 v12, v127, v24
	v_fmac_f32_e32 v23, v126, v24
	v_fma_f32 v24, v126, v25, -v12
	s_waitcnt lgkmcnt(8)
	v_mul_f32_e32 v67, v129, v31
	v_mul_f32_e32 v12, v129, v30
	v_fmac_f32_e32 v67, v128, v30
	v_fma_f32 v30, v128, v31, -v12
	v_mul_f32_e32 v31, v131, v33
	v_mul_f32_e32 v12, v131, v32
	v_fmac_f32_e32 v31, v130, v32
	;; [unrolled: 9-line block ×3, first 2 shown]
	v_fma_f32 v40, v116, v41, -v12
	s_waitcnt lgkmcnt(4)
	v_mul_f32_e32 v69, v119, v47
	v_mul_f32_e32 v12, v119, v46
	v_fmac_f32_e32 v69, v118, v46
	v_fma_f32 v46, v118, v47, -v12
	v_mul_f32_e32 v47, v121, v49
	v_mul_f32_e32 v12, v121, v48
	v_sub_f32_e32 v15, v19, v15
	v_fmac_f32_e32 v3, v135, v14
	v_mul_f32_e32 v14, v138, v17
	v_fmac_f32_e32 v47, v120, v48
	v_fma_f32 v48, v120, v49, -v12
	s_waitcnt lgkmcnt(2)
	v_mul_f32_e32 v70, v123, v55
	v_mul_f32_e32 v12, v123, v54
	v_fma_f32 v17, v19, 2.0, -v15
	v_sub_f32_e32 v19, v21, v22
	v_sub_f32_e32 v22, v26, v23
	;; [unrolled: 1-line block ×3, first 2 shown]
	v_fmac_f32_e32 v70, v122, v54
	v_fma_f32 v54, v122, v55, -v12
	v_mul_f32_e32 v55, v111, v57
	v_mul_f32_e32 v12, v111, v56
	v_fma_f32 v25, v27, 2.0, -v23
	v_sub_f32_e32 v27, v29, v30
	v_sub_f32_e32 v30, v34, v31
	;; [unrolled: 1-line block ×3, first 2 shown]
	v_fmac_f32_e32 v55, v110, v56
	v_fma_f32 v56, v110, v57, -v12
	s_waitcnt lgkmcnt(0)
	v_mul_f32_e32 v71, v113, v63
	v_mul_f32_e32 v12, v113, v62
	v_fma_f32 v33, v35, 2.0, -v31
	v_sub_f32_e32 v35, v37, v38
	v_sub_f32_e32 v38, v42, v39
	v_sub_f32_e32 v39, v43, v40
	v_fmac_f32_e32 v14, v137, v16
	v_fmac_f32_e32 v71, v112, v62
	v_fma_f32 v62, v112, v63, -v12
	v_mul_f32_e32 v63, v115, v65
	v_mul_f32_e32 v12, v115, v64
	v_fma_f32 v41, v43, 2.0, -v39
	v_sub_f32_e32 v43, v45, v46
	v_sub_f32_e32 v46, v50, v47
	;; [unrolled: 1-line block ×3, first 2 shown]
	v_fmac_f32_e32 v63, v114, v64
	v_fma_f32 v64, v114, v65, -v12
	v_sub_f32_e32 v1, v6, v1
	v_sub_f32_e32 v2, v7, v2
	;; [unrolled: 1-line block ×5, first 2 shown]
	v_fma_f32 v49, v51, 2.0, -v47
	v_sub_f32_e32 v51, v53, v54
	v_sub_f32_e32 v54, v58, v55
	;; [unrolled: 1-line block ×3, first 2 shown]
	v_fma_f32 v6, v6, 2.0, -v1
	v_fma_f32 v7, v7, 2.0, -v2
	;; [unrolled: 1-line block ×5, first 2 shown]
	v_sub_f32_e32 v18, v20, v66
	v_fma_f32 v24, v26, 2.0, -v22
	v_sub_f32_e32 v26, v28, v67
	v_fma_f32 v32, v34, 2.0, -v30
	;; [unrolled: 2-line block ×5, first 2 shown]
	v_fma_f32 v57, v59, 2.0, -v55
	v_sub_f32_e32 v58, v60, v71
	v_sub_f32_e32 v59, v61, v62
	;; [unrolled: 1-line block ×4, first 2 shown]
	v_fma_f32 v20, v20, 2.0, -v18
	v_fma_f32 v21, v21, 2.0, -v19
	;; [unrolled: 1-line block ×14, first 2 shown]
	ds_write2st64_b64 v0, v[6:7], v[8:9] offset1:2
	ds_write2st64_b64 v0, v[12:13], v[14:15] offset0:32 offset1:34
	ds_write2st64_b64 v0, v[16:17], v[20:21] offset0:4 offset1:6
	ds_write2st64_b64 v0, v[18:19], v[22:23] offset0:36 offset1:38
	ds_write2st64_b64 v0, v[24:25], v[28:29] offset0:8 offset1:10
	ds_write2st64_b64 v0, v[26:27], v[30:31] offset0:40 offset1:42
	ds_write2st64_b64 v0, v[32:33], v[36:37] offset0:12 offset1:14
	ds_write2st64_b64 v0, v[34:35], v[38:39] offset0:44 offset1:46
	ds_write2st64_b64 v0, v[40:41], v[44:45] offset0:16 offset1:18
	ds_write2st64_b64 v0, v[42:43], v[46:47] offset0:48 offset1:50
	ds_write2st64_b64 v0, v[48:49], v[52:53] offset0:20 offset1:22
	ds_write2st64_b64 v0, v[50:51], v[54:55] offset0:52 offset1:54
	ds_write2st64_b64 v0, v[56:57], v[60:61] offset0:24 offset1:26
	ds_write2st64_b64 v0, v[10:11], v[1:2] offset0:28 offset1:30
	ds_write2st64_b64 v0, v[58:59], v[62:63] offset0:56 offset1:58
	s_waitcnt lgkmcnt(0)
	s_barrier
	ds_read2st64_b64 v[14:17], v0 offset1:2
	v_mov_b32_e32 v1, v5
	buffer_load_dword v5, off, s[20:23], 0 offset:232 ; 4-byte Folded Reload
	buffer_load_dword v6, off, s[20:23], 0 offset:236 ; 4-byte Folded Reload
	v_mad_u64_u32 v[1:2], s[2:3], s3, v72, v[1:2]
	s_mov_b32 s2, 0x11111111
	s_mov_b32 s3, 0x3f311111
	v_mov_b32_e32 v34, 0xffff9800
	s_waitcnt vmcnt(0) lgkmcnt(0)
	v_mul_f32_e32 v2, v6, v15
	v_fmac_f32_e32 v2, v5, v14
	v_cvt_f64_f32_e32 v[2:3], v2
	v_mov_b32_e32 v7, v6
	v_mov_b32_e32 v6, v5
	v_mul_f32_e32 v5, v7, v14
	v_mul_f64 v[2:3], v[2:3], s[2:3]
	v_fma_f32 v5, v6, v15, -v5
	v_cvt_f64_f32_e32 v[5:6], v5
	v_mad_u64_u32 v[7:8], s[6:7], s0, v234, 0
	v_mul_f64 v[9:10], v[5:6], s[2:3]
	v_mov_b32_e32 v5, v1
	v_mov_b32_e32 v1, v8
	v_mad_u64_u32 v[11:12], s[6:7], s1, v234, v[1:2]
	ds_read2st64_b64 v[12:15], v0 offset0:4 offset1:6
	buffer_load_dword v18, off, s[20:23], 0 offset:224 ; 4-byte Folded Reload
	buffer_load_dword v19, off, s[20:23], 0 offset:228 ; 4-byte Folded Reload
	v_cvt_f32_f64_e32 v1, v[2:3]
	v_lshlrev_b64 v[3:4], 3, v[4:5]
	v_cvt_f32_f64_e32 v2, v[9:10]
	v_mov_b32_e32 v8, v11
	v_mov_b32_e32 v11, s5
	s_mul_hi_u32 s5, s0, 0xc00
	s_waitcnt vmcnt(0) lgkmcnt(0)
	v_mul_f32_e32 v5, v19, v15
	v_fmac_f32_e32 v5, v18, v14
	v_cvt_f64_f32_e32 v[5:6], v5
	v_mul_f32_e32 v9, v19, v14
	v_add_co_u32_e32 v14, vcc, s4, v3
	v_fma_f32 v9, v18, v15, -v9
	v_addc_co_u32_e32 v11, vcc, v11, v4, vcc
	v_mul_f64 v[3:4], v[5:6], s[2:3]
	v_cvt_f64_f32_e32 v[9:10], v9
	v_lshlrev_b64 v[5:6], 3, v[7:8]
	ds_read2st64_b64 v[18:21], v0 offset0:12 offset1:14
	s_mul_i32 s4, s1, 0xc00
	v_mul_f64 v[7:8], v[9:10], s[2:3]
	v_add_co_u32_e32 v9, vcc, v14, v5
	v_addc_co_u32_e32 v10, vcc, v11, v6, vcc
	global_store_dwordx2 v[9:10], v[1:2], off
	v_cvt_f32_f64_e32 v6, v[3:4]
	buffer_load_dword v4, off, s[20:23], 0 offset:216 ; 4-byte Folded Reload
	buffer_load_dword v5, off, s[20:23], 0 offset:220 ; 4-byte Folded Reload
	v_cvt_f32_f64_e32 v7, v[7:8]
	s_add_i32 s4, s5, s4
	s_mul_i32 s5, s0, 0xc00
	v_mov_b32_e32 v11, s4
	v_add_co_u32_e32 v8, vcc, s5, v9
	v_addc_co_u32_e32 v9, vcc, v10, v11, vcc
	global_store_dwordx2 v[8:9], v[6:7], off
	v_add_co_u32_e32 v8, vcc, s5, v8
	s_mulk_i32 s1, 0x9800
	s_sub_i32 s1, s1, s0
	s_waitcnt vmcnt(1) lgkmcnt(0)
	v_mul_f32_e32 v1, v5, v19
	v_mul_f32_e32 v3, v5, v18
	v_fmac_f32_e32 v1, v4, v18
	v_fma_f32 v3, v4, v19, -v3
	v_cvt_f64_f32_e32 v[1:2], v1
	v_cvt_f64_f32_e32 v[3:4], v3
	v_mul_f64 v[14:15], v[1:2], s[2:3]
	v_mul_f64 v[18:19], v[3:4], s[2:3]
	ds_read2st64_b64 v[2:5], v0 offset0:16 offset1:18
	buffer_load_dword v22, off, s[20:23], 0 offset:208 ; 4-byte Folded Reload
	buffer_load_dword v23, off, s[20:23], 0 offset:212 ; 4-byte Folded Reload
	v_cvt_f32_f64_e32 v10, v[14:15]
	v_cvt_f32_f64_e32 v11, v[18:19]
	s_waitcnt vmcnt(0) lgkmcnt(0)
	v_mul_f32_e32 v1, v23, v5
	v_fmac_f32_e32 v1, v22, v4
	v_cvt_f64_f32_e32 v[6:7], v1
	v_mov_b32_e32 v1, s4
	v_addc_co_u32_e32 v9, vcc, v9, v1, vcc
	v_mul_f32_e32 v4, v23, v4
	global_store_dwordx2 v[8:9], v[10:11], off
	v_fma_f32 v4, v22, v5, -v4
	ds_read2st64_b64 v[22:25], v0 offset0:24 offset1:26
	buffer_load_dword v14, off, s[20:23], 0 offset:192 ; 4-byte Folded Reload
	buffer_load_dword v15, off, s[20:23], 0 offset:196 ; 4-byte Folded Reload
	v_cvt_f64_f32_e32 v[4:5], v4
	v_mul_f64 v[6:7], v[6:7], s[2:3]
	v_add_co_u32_e32 v8, vcc, s5, v8
	v_mul_f64 v[4:5], v[4:5], s[2:3]
	v_cvt_f32_f64_e32 v10, v[6:7]
	v_cvt_f32_f64_e32 v11, v[4:5]
	s_waitcnt vmcnt(0) lgkmcnt(0)
	v_mul_f32_e32 v1, v15, v23
	v_fmac_f32_e32 v1, v14, v22
	v_cvt_f64_f32_e32 v[6:7], v1
	v_mul_f32_e32 v1, v15, v22
	v_fma_f32 v1, v14, v23, -v1
	v_cvt_f64_f32_e32 v[14:15], v1
	v_mov_b32_e32 v1, s4
	v_addc_co_u32_e32 v9, vcc, v9, v1, vcc
	global_store_dwordx2 v[8:9], v[10:11], off
	v_mul_f64 v[18:19], v[6:7], s[2:3]
	ds_read2st64_b64 v[4:7], v0 offset0:28 offset1:30
	buffer_load_dword v22, off, s[20:23], 0 offset:176 ; 4-byte Folded Reload
	buffer_load_dword v23, off, s[20:23], 0 offset:180 ; 4-byte Folded Reload
	v_mul_f64 v[14:15], v[14:15], s[2:3]
	ds_read2st64_b64 v[26:29], v0 offset0:36 offset1:38
	v_cvt_f32_f64_e32 v18, v[18:19]
	v_cvt_f32_f64_e32 v19, v[14:15]
	v_add_co_u32_e32 v14, vcc, s5, v8
	s_waitcnt vmcnt(0) lgkmcnt(1)
	v_mul_f32_e32 v1, v23, v7
	v_fmac_f32_e32 v1, v22, v6
	v_cvt_f64_f32_e32 v[10:11], v1
	v_mov_b32_e32 v1, s4
	v_addc_co_u32_e32 v15, vcc, v9, v1, vcc
	global_store_dwordx2 v[14:15], v[18:19], off
	buffer_load_dword v18, off, s[20:23], 0 offset:160 ; 4-byte Folded Reload
	s_nop 0
	buffer_load_dword v19, off, s[20:23], 0 offset:164 ; 4-byte Folded Reload
	v_mul_f32_e32 v6, v23, v6
	v_fma_f32 v6, v22, v7, -v6
	v_cvt_f64_f32_e32 v[6:7], v6
	v_mul_f64 v[10:11], v[10:11], s[2:3]
	v_add_co_u32_e32 v14, vcc, s5, v14
	v_mul_f64 v[6:7], v[6:7], s[2:3]
	v_cvt_f32_f64_e32 v10, v[10:11]
	v_cvt_f32_f64_e32 v11, v[6:7]
	s_waitcnt vmcnt(0) lgkmcnt(0)
	v_mul_f32_e32 v1, v19, v27
	v_fmac_f32_e32 v1, v18, v26
	v_cvt_f64_f32_e32 v[8:9], v1
	v_mul_f32_e32 v1, v19, v26
	v_fma_f32 v1, v18, v27, -v1
	v_cvt_f64_f32_e32 v[18:19], v1
	v_mov_b32_e32 v1, s4
	v_addc_co_u32_e32 v15, vcc, v15, v1, vcc
	global_store_dwordx2 v[14:15], v[10:11], off
	v_mul_f64 v[22:23], v[8:9], s[2:3]
	ds_read2st64_b64 v[6:9], v0 offset0:40 offset1:42
	buffer_load_dword v26, off, s[20:23], 0 offset:144 ; 4-byte Folded Reload
	buffer_load_dword v27, off, s[20:23], 0 offset:148 ; 4-byte Folded Reload
	v_mul_f64 v[18:19], v[18:19], s[2:3]
	v_add_co_u32_e32 v14, vcc, s5, v14
	ds_read2st64_b64 v[30:33], v0 offset0:48 offset1:50
	v_cvt_f32_f64_e32 v22, v[22:23]
	v_cvt_f32_f64_e32 v23, v[18:19]
	s_waitcnt vmcnt(0) lgkmcnt(1)
	v_mul_f32_e32 v1, v27, v9
	v_fmac_f32_e32 v1, v26, v8
	v_cvt_f64_f32_e32 v[10:11], v1
	v_mov_b32_e32 v1, s4
	v_addc_co_u32_e32 v15, vcc, v15, v1, vcc
	global_store_dwordx2 v[14:15], v[22:23], off
	buffer_load_dword v22, off, s[20:23], 0 offset:128 ; 4-byte Folded Reload
	s_nop 0
	buffer_load_dword v23, off, s[20:23], 0 offset:132 ; 4-byte Folded Reload
	v_mul_f32_e32 v8, v27, v8
	v_fma_f32 v8, v26, v9, -v8
	v_cvt_f64_f32_e32 v[8:9], v8
	v_mul_f64 v[10:11], v[10:11], s[2:3]
	v_add_co_u32_e32 v14, vcc, s5, v14
	v_mul_f64 v[8:9], v[8:9], s[2:3]
	v_cvt_f32_f64_e32 v18, v[10:11]
	v_cvt_f32_f64_e32 v19, v[8:9]
	s_waitcnt vmcnt(0) lgkmcnt(0)
	v_mul_f32_e32 v1, v23, v31
	v_fmac_f32_e32 v1, v22, v30
	v_cvt_f64_f32_e32 v[10:11], v1
	v_mul_f32_e32 v1, v23, v30
	v_fma_f32 v1, v22, v31, -v1
	v_cvt_f64_f32_e32 v[22:23], v1
	v_mov_b32_e32 v1, s4
	v_addc_co_u32_e32 v15, vcc, v15, v1, vcc
	global_store_dwordx2 v[14:15], v[18:19], off
	v_mul_f64 v[26:27], v[10:11], s[2:3]
	ds_read2st64_b64 v[8:11], v0 offset0:52 offset1:54
	buffer_load_dword v30, off, s[20:23], 0 offset:104 ; 4-byte Folded Reload
	buffer_load_dword v31, off, s[20:23], 0 offset:108 ; 4-byte Folded Reload
	v_mul_f64 v[22:23], v[22:23], s[2:3]
	v_cvt_f32_f64_e32 v26, v[26:27]
	v_cvt_f32_f64_e32 v27, v[22:23]
	v_add_co_u32_e32 v22, vcc, s5, v14
	s_waitcnt vmcnt(0) lgkmcnt(0)
	v_mul_f32_e32 v1, v31, v11
	v_fmac_f32_e32 v1, v30, v10
	v_cvt_f64_f32_e32 v[18:19], v1
	v_mov_b32_e32 v1, s4
	v_addc_co_u32_e32 v23, vcc, v15, v1, vcc
	global_store_dwordx2 v[22:23], v[26:27], off
	buffer_load_dword v26, off, s[20:23], 0 offset:96 ; 4-byte Folded Reload
	s_nop 0
	buffer_load_dword v27, off, s[20:23], 0 offset:100 ; 4-byte Folded Reload
	v_mul_f32_e32 v10, v31, v10
	v_fma_f32 v10, v30, v11, -v10
	v_cvt_f64_f32_e32 v[10:11], v10
	v_mul_f64 v[18:19], v[18:19], s[2:3]
	v_add_co_u32_e32 v22, vcc, s5, v22
	v_mul_f64 v[10:11], v[10:11], s[2:3]
	v_cvt_f32_f64_e32 v18, v[18:19]
	v_cvt_f32_f64_e32 v19, v[10:11]
	s_waitcnt vmcnt(0)
	v_mul_f32_e32 v1, v27, v17
	v_fmac_f32_e32 v1, v26, v16
	v_cvt_f64_f32_e32 v[14:15], v1
	v_mul_f32_e32 v1, v27, v16
	v_fma_f32 v1, v26, v17, -v1
	v_cvt_f64_f32_e32 v[16:17], v1
	v_mul_f64 v[10:11], v[14:15], s[2:3]
	v_mov_b32_e32 v1, s4
	v_addc_co_u32_e32 v23, vcc, v23, v1, vcc
	v_mul_f64 v[26:27], v[16:17], s[2:3]
	global_store_dwordx2 v[22:23], v[18:19], off
	ds_read2st64_b64 v[14:17], v0 offset0:8 offset1:10
	v_mad_u64_u32 v[22:23], s[6:7], s0, v34, v[22:23]
	v_cvt_f32_f64_e32 v10, v[10:11]
	v_add_u32_e32 v23, s1, v23
	v_cvt_f32_f64_e32 v11, v[26:27]
	buffer_load_dword v26, off, s[20:23], 0 offset:72 ; 4-byte Folded Reload
	buffer_load_dword v27, off, s[20:23], 0 offset:76 ; 4-byte Folded Reload
	s_waitcnt vmcnt(0) lgkmcnt(0)
	v_mul_f32_e32 v1, v27, v15
	v_fmac_f32_e32 v1, v26, v14
	v_cvt_f64_f32_e32 v[18:19], v1
	v_mul_f32_e32 v1, v27, v14
	global_store_dwordx2 v[22:23], v[10:11], off
	v_fma_f32 v1, v26, v15, -v1
	buffer_load_dword v26, off, s[20:23], 0 offset:200 ; 4-byte Folded Reload
	buffer_load_dword v27, off, s[20:23], 0 offset:204 ; 4-byte Folded Reload
	v_cvt_f64_f32_e32 v[14:15], v1
	v_mul_f64 v[18:19], v[18:19], s[2:3]
	v_add_co_u32_e32 v22, vcc, s5, v22
	v_mul_f64 v[10:11], v[14:15], s[2:3]
	v_cvt_f32_f64_e32 v14, v[18:19]
	v_cvt_f32_f64_e32 v15, v[10:11]
	s_waitcnt vmcnt(0)
	v_mul_f32_e32 v1, v27, v21
	v_fmac_f32_e32 v1, v26, v20
	v_cvt_f64_f32_e32 v[18:19], v1
	v_mul_f32_e32 v1, v27, v20
	v_fma_f32 v1, v26, v21, -v1
	v_cvt_f64_f32_e32 v[20:21], v1
	v_mov_b32_e32 v1, s4
	v_addc_co_u32_e32 v23, vcc, v23, v1, vcc
	global_store_dwordx2 v[22:23], v[14:15], off
	v_mul_f64 v[10:11], v[18:19], s[2:3]
	v_mul_f64 v[26:27], v[20:21], s[2:3]
	ds_read2st64_b64 v[18:21], v0 offset0:20 offset1:22
	buffer_load_dword v30, off, s[20:23], 0 offset:184 ; 4-byte Folded Reload
	buffer_load_dword v31, off, s[20:23], 0 offset:188 ; 4-byte Folded Reload
	v_cvt_f32_f64_e32 v10, v[10:11]
	v_cvt_f32_f64_e32 v11, v[26:27]
	v_add_co_u32_e32 v26, vcc, s5, v22
	s_waitcnt vmcnt(0) lgkmcnt(0)
	v_mul_f32_e32 v1, v31, v19
	v_fmac_f32_e32 v1, v30, v18
	v_cvt_f64_f32_e32 v[14:15], v1
	v_mov_b32_e32 v1, s4
	v_addc_co_u32_e32 v27, vcc, v23, v1, vcc
	global_store_dwordx2 v[26:27], v[10:11], off
	buffer_load_dword v22, off, s[20:23], 0 offset:168 ; 4-byte Folded Reload
	buffer_load_dword v23, off, s[20:23], 0 offset:172 ; 4-byte Folded Reload
	v_mul_f32_e32 v18, v31, v18
	v_fma_f32 v18, v30, v19, -v18
	v_cvt_f64_f32_e32 v[18:19], v18
	v_mul_f64 v[14:15], v[14:15], s[2:3]
	v_add_co_u32_e32 v26, vcc, s5, v26
	v_mul_f64 v[10:11], v[18:19], s[2:3]
	v_cvt_f32_f64_e32 v14, v[14:15]
	v_cvt_f32_f64_e32 v15, v[10:11]
	s_waitcnt vmcnt(0)
	v_mul_f32_e32 v1, v23, v25
	v_fmac_f32_e32 v1, v22, v24
	v_cvt_f64_f32_e32 v[18:19], v1
	v_mul_f32_e32 v1, v23, v24
	v_fma_f32 v1, v22, v25, -v1
	v_cvt_f64_f32_e32 v[22:23], v1
	v_mov_b32_e32 v1, s4
	v_addc_co_u32_e32 v27, vcc, v27, v1, vcc
	global_store_dwordx2 v[26:27], v[14:15], off
	v_mul_f64 v[10:11], v[18:19], s[2:3]
	v_mul_f64 v[18:19], v[22:23], s[2:3]
	ds_read2st64_b64 v[22:25], v0 offset0:32 offset1:34
	buffer_load_dword v30, off, s[20:23], 0 offset:152 ; 4-byte Folded Reload
	buffer_load_dword v31, off, s[20:23], 0 offset:156 ; 4-byte Folded Reload
	v_cvt_f32_f64_e32 v10, v[10:11]
	v_cvt_f32_f64_e32 v11, v[18:19]
	s_waitcnt vmcnt(0) lgkmcnt(0)
	v_mul_f32_e32 v1, v31, v23
	v_fmac_f32_e32 v1, v30, v22
	v_cvt_f64_f32_e32 v[14:15], v1
	v_mov_b32_e32 v1, s4
	v_mul_f32_e32 v18, v31, v22
	v_add_co_u32_e32 v22, vcc, s5, v26
	v_fma_f32 v18, v30, v23, -v18
	v_addc_co_u32_e32 v23, vcc, v27, v1, vcc
	global_store_dwordx2 v[22:23], v[10:11], off
	buffer_load_dword v26, off, s[20:23], 0 offset:136 ; 4-byte Folded Reload
	buffer_load_dword v27, off, s[20:23], 0 offset:140 ; 4-byte Folded Reload
	v_cvt_f64_f32_e32 v[18:19], v18
	v_mul_f64 v[14:15], v[14:15], s[2:3]
	v_add_co_u32_e32 v22, vcc, s5, v22
	v_mul_f64 v[10:11], v[18:19], s[2:3]
	v_cvt_f32_f64_e32 v14, v[14:15]
	v_cvt_f32_f64_e32 v15, v[10:11]
	s_waitcnt vmcnt(0)
	v_mul_f32_e32 v1, v27, v29
	v_fmac_f32_e32 v1, v26, v28
	v_cvt_f64_f32_e32 v[18:19], v1
	v_mul_f32_e32 v1, v27, v28
	v_fma_f32 v1, v26, v29, -v1
	v_cvt_f64_f32_e32 v[26:27], v1
	v_mov_b32_e32 v1, s4
	v_addc_co_u32_e32 v23, vcc, v23, v1, vcc
	global_store_dwordx2 v[22:23], v[14:15], off
	v_mul_f64 v[10:11], v[18:19], s[2:3]
	v_mul_f64 v[18:19], v[26:27], s[2:3]
	ds_read2st64_b64 v[26:29], v0 offset0:44 offset1:46
	buffer_load_dword v30, off, s[20:23], 0 offset:120 ; 4-byte Folded Reload
	buffer_load_dword v31, off, s[20:23], 0 offset:124 ; 4-byte Folded Reload
	v_add_co_u32_e32 v22, vcc, s5, v22
	v_cvt_f32_f64_e32 v10, v[10:11]
	v_cvt_f32_f64_e32 v11, v[18:19]
	s_waitcnt vmcnt(0) lgkmcnt(0)
	v_mul_f32_e32 v1, v31, v27
	v_fmac_f32_e32 v1, v30, v26
	v_cvt_f64_f32_e32 v[14:15], v1
	v_mov_b32_e32 v1, s4
	v_addc_co_u32_e32 v23, vcc, v23, v1, vcc
	v_mul_f32_e32 v18, v31, v26
	global_store_dwordx2 v[22:23], v[10:11], off
	v_fma_f32 v18, v30, v27, -v18
	buffer_load_dword v26, off, s[20:23], 0 offset:112 ; 4-byte Folded Reload
	buffer_load_dword v27, off, s[20:23], 0 offset:116 ; 4-byte Folded Reload
	v_cvt_f64_f32_e32 v[18:19], v18
	v_mul_f64 v[14:15], v[14:15], s[2:3]
	v_mul_f64 v[10:11], v[18:19], s[2:3]
	v_cvt_f32_f64_e32 v14, v[14:15]
	v_cvt_f32_f64_e32 v15, v[10:11]
	s_waitcnt vmcnt(0)
	v_mul_f32_e32 v1, v27, v33
	v_fmac_f32_e32 v1, v26, v32
	v_cvt_f64_f32_e32 v[18:19], v1
	v_mul_f32_e32 v1, v27, v32
	v_fma_f32 v1, v26, v33, -v1
	v_cvt_f64_f32_e32 v[26:27], v1
	v_mov_b32_e32 v1, s4
	ds_read2st64_b64 v[30:33], v0 offset0:56 offset1:58
	v_add_co_u32_e32 v0, vcc, s5, v22
	v_addc_co_u32_e32 v1, vcc, v23, v1, vcc
	global_store_dwordx2 v[0:1], v[14:15], off
	v_mul_f64 v[10:11], v[18:19], s[2:3]
	v_mul_f64 v[18:19], v[26:27], s[2:3]
	buffer_load_dword v26, off, s[20:23], 0 offset:88 ; 4-byte Folded Reload
	buffer_load_dword v27, off, s[20:23], 0 offset:92 ; 4-byte Folded Reload
	v_mov_b32_e32 v22, s4
	v_add_co_u32_e32 v0, vcc, s5, v0
	v_addc_co_u32_e32 v1, vcc, v1, v22, vcc
	v_cvt_f32_f64_e32 v10, v[10:11]
	v_cvt_f32_f64_e32 v11, v[18:19]
	s_waitcnt vmcnt(0) lgkmcnt(0)
	v_mul_f32_e32 v14, v27, v31
	v_mul_f32_e32 v18, v27, v30
	v_fmac_f32_e32 v14, v26, v30
	v_fma_f32 v18, v26, v31, -v18
	buffer_load_dword v26, off, s[20:23], 0 offset:80 ; 4-byte Folded Reload
	buffer_load_dword v27, off, s[20:23], 0 offset:84 ; 4-byte Folded Reload
	;; [unrolled: 1-line block ×4, first 2 shown]
	v_cvt_f64_f32_e32 v[14:15], v14
	v_cvt_f64_f32_e32 v[18:19], v18
	v_mul_f64 v[14:15], v[14:15], s[2:3]
	v_mul_f64 v[18:19], v[18:19], s[2:3]
	v_cvt_f32_f64_e32 v14, v[14:15]
	s_waitcnt vmcnt(2)
	v_mul_f32_e32 v15, v27, v13
	v_fmac_f32_e32 v15, v26, v12
	v_mul_f32_e32 v12, v27, v12
	v_fma_f32 v12, v26, v13, -v12
	v_cvt_f64_f32_e32 v[22:23], v15
	v_cvt_f64_f32_e32 v[12:13], v12
	v_cvt_f32_f64_e32 v15, v[18:19]
	v_mov_b32_e32 v27, s4
	v_mul_f64 v[18:19], v[22:23], s[2:3]
	v_mul_f64 v[12:13], v[12:13], s[2:3]
	s_waitcnt vmcnt(0)
	v_mul_f32_e32 v22, v31, v17
	v_add_co_u32_e32 v26, vcc, s5, v0
	v_fmac_f32_e32 v22, v30, v16
	v_mul_f32_e32 v16, v31, v16
	v_addc_co_u32_e32 v27, vcc, v1, v27, vcc
	v_fma_f32 v16, v30, v17, -v16
	v_mad_u64_u32 v[30:31], s[6:7], s0, v34, v[26:27]
	v_cvt_f32_f64_e32 v18, v[18:19]
	v_cvt_f32_f64_e32 v19, v[12:13]
	v_add_u32_e32 v31, s1, v31
	global_store_dwordx2 v[0:1], v[10:11], off
	global_store_dwordx2 v[26:27], v[14:15], off
	v_cvt_f64_f32_e32 v[22:23], v22
	global_store_dwordx2 v[30:31], v[18:19], off
	buffer_load_dword v14, off, s[20:23], 0 offset:56 ; 4-byte Folded Reload
	buffer_load_dword v15, off, s[20:23], 0 offset:60 ; 4-byte Folded Reload
	v_cvt_f64_f32_e32 v[16:17], v16
	v_mul_f64 v[22:23], v[22:23], s[2:3]
	v_mov_b32_e32 v13, s4
	v_add_co_u32_e32 v12, vcc, s5, v30
	v_mul_f64 v[16:17], v[16:17], s[2:3]
	v_addc_co_u32_e32 v13, vcc, v31, v13, vcc
	v_cvt_f32_f64_e32 v0, v[22:23]
	v_cvt_f32_f64_e32 v1, v[16:17]
	global_store_dwordx2 v[12:13], v[0:1], off
	v_add_co_u32_e32 v12, vcc, s5, v12
	s_waitcnt vmcnt(1)
	v_mul_f32_e32 v10, v15, v3
	v_fmac_f32_e32 v10, v14, v2
	v_mul_f32_e32 v2, v15, v2
	buffer_load_dword v15, off, s[20:23], 0 offset:48 ; 4-byte Folded Reload
	buffer_load_dword v16, off, s[20:23], 0 offset:52 ; 4-byte Folded Reload
	v_fma_f32 v2, v14, v3, -v2
	v_cvt_f64_f32_e32 v[10:11], v10
	v_cvt_f64_f32_e32 v[2:3], v2
	v_mul_f64 v[0:1], v[10:11], s[2:3]
	v_mul_f64 v[2:3], v[2:3], s[2:3]
	v_cvt_f32_f64_e32 v0, v[0:1]
	v_cvt_f32_f64_e32 v1, v[2:3]
	s_waitcnt vmcnt(0)
	v_mul_f32_e32 v10, v16, v21
	v_mul_f32_e32 v14, v16, v20
	v_fmac_f32_e32 v10, v15, v20
	v_fma_f32 v14, v15, v21, -v14
	v_cvt_f64_f32_e32 v[10:11], v10
	v_cvt_f64_f32_e32 v[14:15], v14
	v_mul_f64 v[2:3], v[10:11], s[2:3]
	v_mul_f64 v[10:11], v[14:15], s[2:3]
	v_mov_b32_e32 v14, s4
	v_addc_co_u32_e32 v13, vcc, v13, v14, vcc
	global_store_dwordx2 v[12:13], v[0:1], off
	buffer_load_dword v14, off, s[20:23], 0 offset:40 ; 4-byte Folded Reload
	buffer_load_dword v15, off, s[20:23], 0 offset:44 ; 4-byte Folded Reload
	v_cvt_f32_f64_e32 v0, v[2:3]
	v_cvt_f32_f64_e32 v1, v[10:11]
	v_mov_b32_e32 v11, s4
	v_add_co_u32_e32 v10, vcc, s5, v12
	v_addc_co_u32_e32 v11, vcc, v13, v11, vcc
	global_store_dwordx2 v[10:11], v[0:1], off
	v_add_co_u32_e32 v10, vcc, s5, v10
	s_waitcnt vmcnt(1)
	v_mul_f32_e32 v2, v15, v5
	v_fmac_f32_e32 v2, v14, v4
	v_mul_f32_e32 v4, v15, v4
	v_fma_f32 v4, v14, v5, -v4
	buffer_load_dword v13, off, s[20:23], 0 offset:32 ; 4-byte Folded Reload
	buffer_load_dword v14, off, s[20:23], 0 offset:36 ; 4-byte Folded Reload
	v_cvt_f64_f32_e32 v[2:3], v2
	v_cvt_f64_f32_e32 v[4:5], v4
	v_mul_f64 v[0:1], v[2:3], s[2:3]
	v_mul_f64 v[2:3], v[4:5], s[2:3]
	v_cvt_f32_f64_e32 v0, v[0:1]
	v_cvt_f32_f64_e32 v1, v[2:3]
	s_waitcnt vmcnt(0)
	v_mul_f32_e32 v4, v14, v25
	v_mul_f32_e32 v12, v14, v24
	v_fmac_f32_e32 v4, v13, v24
	v_fma_f32 v12, v13, v25, -v12
	v_cvt_f64_f32_e32 v[4:5], v4
	v_cvt_f64_f32_e32 v[12:13], v12
	v_mul_f64 v[2:3], v[4:5], s[2:3]
	v_mul_f64 v[4:5], v[12:13], s[2:3]
	v_mov_b32_e32 v12, s4
	v_addc_co_u32_e32 v11, vcc, v11, v12, vcc
	global_store_dwordx2 v[10:11], v[0:1], off
	buffer_load_dword v13, off, s[20:23], 0 offset:24 ; 4-byte Folded Reload
	buffer_load_dword v14, off, s[20:23], 0 offset:28 ; 4-byte Folded Reload
	v_cvt_f32_f64_e32 v0, v[2:3]
	v_cvt_f32_f64_e32 v1, v[4:5]
	s_waitcnt vmcnt(0)
	v_mul_f32_e32 v2, v14, v7
	v_fmac_f32_e32 v2, v13, v6
	v_mul_f32_e32 v4, v14, v6
	v_add_co_u32_e32 v6, vcc, s5, v10
	v_fma_f32 v4, v13, v7, -v4
	v_addc_co_u32_e32 v7, vcc, v11, v12, vcc
	global_store_dwordx2 v[6:7], v[0:1], off
	buffer_load_dword v11, off, s[20:23], 0 offset:16 ; 4-byte Folded Reload
	buffer_load_dword v12, off, s[20:23], 0 offset:20 ; 4-byte Folded Reload
	v_cvt_f64_f32_e32 v[2:3], v2
	v_cvt_f64_f32_e32 v[4:5], v4
	v_add_co_u32_e32 v6, vcc, s5, v6
	v_mul_f64 v[0:1], v[2:3], s[2:3]
	v_mul_f64 v[2:3], v[4:5], s[2:3]
	v_cvt_f32_f64_e32 v0, v[0:1]
	v_cvt_f32_f64_e32 v1, v[2:3]
	s_waitcnt vmcnt(0)
	v_mul_f32_e32 v4, v12, v29
	v_mul_f32_e32 v10, v12, v28
	v_fmac_f32_e32 v4, v11, v28
	v_fma_f32 v10, v11, v29, -v10
	v_cvt_f64_f32_e32 v[4:5], v4
	v_cvt_f64_f32_e32 v[10:11], v10
	v_mul_f64 v[2:3], v[4:5], s[2:3]
	v_mul_f64 v[4:5], v[10:11], s[2:3]
	v_mov_b32_e32 v10, s4
	v_addc_co_u32_e32 v7, vcc, v7, v10, vcc
	global_store_dwordx2 v[6:7], v[0:1], off
	buffer_load_dword v11, off, s[20:23], 0 offset:8 ; 4-byte Folded Reload
	buffer_load_dword v12, off, s[20:23], 0 offset:12 ; 4-byte Folded Reload
	v_add_co_u32_e32 v6, vcc, s5, v6
	v_cvt_f32_f64_e32 v0, v[2:3]
	v_cvt_f32_f64_e32 v1, v[4:5]
	v_addc_co_u32_e32 v7, vcc, v7, v10, vcc
	global_store_dwordx2 v[6:7], v[0:1], off
	v_add_co_u32_e32 v6, vcc, s5, v6
	s_waitcnt vmcnt(1)
	v_mul_f32_e32 v4, v12, v8
	v_mul_f32_e32 v2, v12, v9
	v_fma_f32 v4, v11, v9, -v4
	buffer_load_dword v9, off, s[20:23], 0  ; 4-byte Folded Reload
	buffer_load_dword v10, off, s[20:23], 0 offset:4 ; 4-byte Folded Reload
	v_fmac_f32_e32 v2, v11, v8
	v_cvt_f64_f32_e32 v[2:3], v2
	v_cvt_f64_f32_e32 v[4:5], v4
	v_mul_f64 v[0:1], v[2:3], s[2:3]
	v_mul_f64 v[2:3], v[4:5], s[2:3]
	v_cvt_f32_f64_e32 v0, v[0:1]
	v_cvt_f32_f64_e32 v1, v[2:3]
	s_waitcnt vmcnt(0)
	v_mul_f32_e32 v4, v10, v33
	v_mul_f32_e32 v8, v10, v32
	v_fmac_f32_e32 v4, v9, v32
	v_fma_f32 v8, v9, v33, -v8
	v_cvt_f64_f32_e32 v[4:5], v4
	v_cvt_f64_f32_e32 v[8:9], v8
	v_mul_f64 v[2:3], v[4:5], s[2:3]
	v_mul_f64 v[4:5], v[8:9], s[2:3]
	v_mov_b32_e32 v8, s4
	v_addc_co_u32_e32 v7, vcc, v7, v8, vcc
	global_store_dwordx2 v[6:7], v[0:1], off
	v_cvt_f32_f64_e32 v0, v[2:3]
	v_cvt_f32_f64_e32 v1, v[4:5]
	v_mov_b32_e32 v3, s4
	v_add_co_u32_e32 v2, vcc, s5, v6
	v_addc_co_u32_e32 v3, vcc, v7, v3, vcc
	global_store_dwordx2 v[2:3], v[0:1], off
.LBB0_2:
	s_endpgm
	.section	.rodata,"a",@progbits
	.p2align	6, 0x0
	.amdhsa_kernel bluestein_single_back_len3840_dim1_sp_op_CI_CI
		.amdhsa_group_segment_fixed_size 30720
		.amdhsa_private_segment_fixed_size 784
		.amdhsa_kernarg_size 104
		.amdhsa_user_sgpr_count 6
		.amdhsa_user_sgpr_private_segment_buffer 1
		.amdhsa_user_sgpr_dispatch_ptr 0
		.amdhsa_user_sgpr_queue_ptr 0
		.amdhsa_user_sgpr_kernarg_segment_ptr 1
		.amdhsa_user_sgpr_dispatch_id 0
		.amdhsa_user_sgpr_flat_scratch_init 0
		.amdhsa_user_sgpr_private_segment_size 0
		.amdhsa_uses_dynamic_stack 0
		.amdhsa_system_sgpr_private_segment_wavefront_offset 1
		.amdhsa_system_sgpr_workgroup_id_x 1
		.amdhsa_system_sgpr_workgroup_id_y 0
		.amdhsa_system_sgpr_workgroup_id_z 0
		.amdhsa_system_sgpr_workgroup_info 0
		.amdhsa_system_vgpr_workitem_id 0
		.amdhsa_next_free_vgpr 256
		.amdhsa_next_free_sgpr 24
		.amdhsa_reserve_vcc 1
		.amdhsa_reserve_flat_scratch 0
		.amdhsa_float_round_mode_32 0
		.amdhsa_float_round_mode_16_64 0
		.amdhsa_float_denorm_mode_32 3
		.amdhsa_float_denorm_mode_16_64 3
		.amdhsa_dx10_clamp 1
		.amdhsa_ieee_mode 1
		.amdhsa_fp16_overflow 0
		.amdhsa_exception_fp_ieee_invalid_op 0
		.amdhsa_exception_fp_denorm_src 0
		.amdhsa_exception_fp_ieee_div_zero 0
		.amdhsa_exception_fp_ieee_overflow 0
		.amdhsa_exception_fp_ieee_underflow 0
		.amdhsa_exception_fp_ieee_inexact 0
		.amdhsa_exception_int_div_zero 0
	.end_amdhsa_kernel
	.text
.Lfunc_end0:
	.size	bluestein_single_back_len3840_dim1_sp_op_CI_CI, .Lfunc_end0-bluestein_single_back_len3840_dim1_sp_op_CI_CI
                                        ; -- End function
	.section	.AMDGPU.csdata,"",@progbits
; Kernel info:
; codeLenInByte = 34948
; NumSgprs: 28
; NumVgprs: 256
; ScratchSize: 784
; MemoryBound: 0
; FloatMode: 240
; IeeeMode: 1
; LDSByteSize: 30720 bytes/workgroup (compile time only)
; SGPRBlocks: 3
; VGPRBlocks: 63
; NumSGPRsForWavesPerEU: 28
; NumVGPRsForWavesPerEU: 256
; Occupancy: 1
; WaveLimiterHint : 1
; COMPUTE_PGM_RSRC2:SCRATCH_EN: 1
; COMPUTE_PGM_RSRC2:USER_SGPR: 6
; COMPUTE_PGM_RSRC2:TRAP_HANDLER: 0
; COMPUTE_PGM_RSRC2:TGID_X_EN: 1
; COMPUTE_PGM_RSRC2:TGID_Y_EN: 0
; COMPUTE_PGM_RSRC2:TGID_Z_EN: 0
; COMPUTE_PGM_RSRC2:TIDIG_COMP_CNT: 0
	.type	__hip_cuid_e56bb8369c723c3b,@object ; @__hip_cuid_e56bb8369c723c3b
	.section	.bss,"aw",@nobits
	.globl	__hip_cuid_e56bb8369c723c3b
__hip_cuid_e56bb8369c723c3b:
	.byte	0                               ; 0x0
	.size	__hip_cuid_e56bb8369c723c3b, 1

	.ident	"AMD clang version 19.0.0git (https://github.com/RadeonOpenCompute/llvm-project roc-6.4.0 25133 c7fe45cf4b819c5991fe208aaa96edf142730f1d)"
	.section	".note.GNU-stack","",@progbits
	.addrsig
	.addrsig_sym __hip_cuid_e56bb8369c723c3b
	.amdgpu_metadata
---
amdhsa.kernels:
  - .args:
      - .actual_access:  read_only
        .address_space:  global
        .offset:         0
        .size:           8
        .value_kind:     global_buffer
      - .actual_access:  read_only
        .address_space:  global
        .offset:         8
        .size:           8
        .value_kind:     global_buffer
      - .actual_access:  read_only
        .address_space:  global
        .offset:         16
        .size:           8
        .value_kind:     global_buffer
      - .actual_access:  read_only
        .address_space:  global
        .offset:         24
        .size:           8
        .value_kind:     global_buffer
      - .actual_access:  read_only
        .address_space:  global
        .offset:         32
        .size:           8
        .value_kind:     global_buffer
      - .offset:         40
        .size:           8
        .value_kind:     by_value
      - .address_space:  global
        .offset:         48
        .size:           8
        .value_kind:     global_buffer
      - .address_space:  global
        .offset:         56
        .size:           8
        .value_kind:     global_buffer
      - .address_space:  global
        .offset:         64
        .size:           8
        .value_kind:     global_buffer
      - .address_space:  global
        .offset:         72
        .size:           8
        .value_kind:     global_buffer
      - .offset:         80
        .size:           4
        .value_kind:     by_value
      - .address_space:  global
        .offset:         88
        .size:           8
        .value_kind:     global_buffer
      - .address_space:  global
        .offset:         96
        .size:           8
        .value_kind:     global_buffer
    .group_segment_fixed_size: 30720
    .kernarg_segment_align: 8
    .kernarg_segment_size: 104
    .language:       OpenCL C
    .language_version:
      - 2
      - 0
    .max_flat_workgroup_size: 128
    .name:           bluestein_single_back_len3840_dim1_sp_op_CI_CI
    .private_segment_fixed_size: 784
    .sgpr_count:     28
    .sgpr_spill_count: 0
    .symbol:         bluestein_single_back_len3840_dim1_sp_op_CI_CI.kd
    .uniform_work_group_size: 1
    .uses_dynamic_stack: false
    .vgpr_count:     256
    .vgpr_spill_count: 195
    .wavefront_size: 64
amdhsa.target:   amdgcn-amd-amdhsa--gfx906
amdhsa.version:
  - 1
  - 2
...

	.end_amdgpu_metadata
